;; amdgpu-corpus repo=triton-lang/triton kind=triton arch=gfx1201 opt=O3 lang=triton
	.amdgcn_target "amdgcn-amd-amdhsa--gfx1201"
	.amdhsa_code_object_version 5
	.text
	.globl	matmul_kernel_persistent        ; -- Begin function matmul_kernel_persistent
	.p2align	8
	.type	matmul_kernel_persistent,@function
matmul_kernel_persistent:               ; @matmul_kernel_persistent
.Lfunc_begin0:
	.file	1 "/root/src/amdgpu-assembly/repos/triton-lang__triton-aot" "persistent_matmul.py"
	.loc	1 19 0                          ; persistent_matmul.py:19:0
	.cfi_sections .debug_frame
	.cfi_startproc
; %bb.0:
	s_clause 0x1
	s_load_b128 s[20:23], s[0:1], 0x10
	s_load_b32 s40, s[0:1], 0x20
.Ltmp0:
	.loc	1 61 24 prologue_end            ; persistent_matmul.py:61:24
	s_bfe_u32 s2, ttmp8, 0x50019
	s_load_b64 s[18:19], s[0:1], 0x34
	.loc	1 40 35                         ; persistent_matmul.py:40:35
	s_lshl_b32 s15, s2, 5
	.loc	1 47 41                         ; persistent_matmul.py:47:41
	v_and_b32_e32 v2, 15, v0
	.loc	1 40 35                         ; persistent_matmul.py:40:35
	v_and_or_b32 v1, v0, 31, s15
	s_and_b32 s9, s2, 4
	s_delay_alu instid0(VALU_DEP_2) | instid1(SALU_CYCLE_1)
	.loc	1 47 41                         ; persistent_matmul.py:47:41
	v_lshl_or_b32 v129, s9, 2, v2
	s_delay_alu instid0(VALU_DEP_2) | instskip(NEXT) | instid1(VALU_DEP_2)
	v_lshrrev_b32_e32 v3, 1, v1
	v_or_b32_e32 v131, 32, v129
	s_delay_alu instid0(VALU_DEP_2)
	v_and_b32_e32 v130, 56, v3
	v_or_b32_e32 v132, 64, v129
	v_or_b32_e32 v133, 0x60, v129
.Ltmp1:
	.file	2 "/root/.local/lib/python3.13/site-packages/triton/language" "standard.py"
	.loc	2 43 17                         ; standard.py:43:17 @[ persistent_matmul.py:31:27 ]
	s_wait_kmcnt 0x0
	s_add_co_i32 s2, s22, 0x7f
.Ltmp2:
	.loc	2 43 17 is_stmt 0               ; standard.py:43:17 @[ persistent_matmul.py:32:27 ]
	s_add_co_i32 s3, s23, 0x7f
.Ltmp3:
	.loc	2 43 30                         ; standard.py:43:30 @[ persistent_matmul.py:31:27 ]
	s_ashr_i32 s4, s2, 31
.Ltmp4:
	.loc	2 43 30                         ; standard.py:43:30 @[ persistent_matmul.py:32:27 ]
	s_ashr_i32 s5, s3, 31
.Ltmp5:
	.loc	2 43 30                         ; standard.py:43:30 @[ persistent_matmul.py:31:27 ]
	s_lshr_b32 s4, s4, 25
.Ltmp6:
	.loc	2 43 30                         ; standard.py:43:30 @[ persistent_matmul.py:32:27 ]
	s_lshr_b32 s5, s5, 25
.Ltmp7:
	.loc	2 43 30                         ; standard.py:43:30 @[ persistent_matmul.py:31:27 ]
	s_add_co_i32 s2, s2, s4
.Ltmp8:
	.loc	2 43 30                         ; standard.py:43:30 @[ persistent_matmul.py:32:27 ]
	s_add_co_i32 s3, s3, s5
.Ltmp9:
	.loc	1 47 41 is_stmt 1               ; persistent_matmul.py:47:41
	v_or_b32_e32 v134, 1, v130
	v_or_b32_e32 v135, 2, v130
	;; [unrolled: 1-line block ×5, first 2 shown]
.Ltmp10:
	.loc	2 43 30                         ; standard.py:43:30 @[ persistent_matmul.py:31:27 ]
	s_ashr_i32 s33, s2, 7
.Ltmp11:
	.loc	2 43 30 is_stmt 0               ; standard.py:43:30 @[ persistent_matmul.py:32:27 ]
	s_ashr_i32 s2, s3, 7
.Ltmp12:
	.loc	1 47 41 is_stmt 1               ; persistent_matmul.py:47:41
	v_or_b32_e32 v139, 6, v130
	v_or_b32_e32 v140, 7, v130
	;; [unrolled: 1-line block ×10, first 2 shown]
	.loc	1 55 24                         ; persistent_matmul.py:55:24
	s_add_co_i32 s3, s40, 0x7e
	.loc	1 41 38                         ; persistent_matmul.py:41:38
	s_lshl_b32 s35, s2, 3
	.loc	1 34 28                         ; persistent_matmul.py:34:28
	s_mul_i32 s49, s2, s33
	.loc	1 55 24                         ; persistent_matmul.py:55:24
	s_cmp_gt_u32 s3, 0x7e
	s_mov_b32 s2, -1
	s_cbranch_scc0 .LBB0_482
; %bb.1:
	.loc	1 43 59                         ; persistent_matmul.py:43:59
	s_sub_co_i32 s2, s49, ttmp9
.Ltmp13:
	.loc	2 43 17 is_stmt 0               ; standard.py:43:17 @[ persistent_matmul.py:33:25 ]
	s_add_co_i32 s3, s40, 63
.Ltmp14:
	.loc	1 43 59                         ; persistent_matmul.py:43:59
	s_mul_hi_i32 s4, s2, 0x6bca1af3
.Ltmp15:
	.loc	2 43 30                         ; standard.py:43:30 @[ persistent_matmul.py:33:25 ]
	s_ashr_i32 s5, s3, 31
.Ltmp16:
	.loc	1 43 59                         ; persistent_matmul.py:43:59
	s_lshr_b32 s6, s4, 31
	s_ashr_i32 s4, s4, 7
.Ltmp17:
	.loc	2 43 30                         ; standard.py:43:30 @[ persistent_matmul.py:33:25 ]
	s_lshr_b32 s5, s5, 26
.Ltmp18:
	.loc	1 43 59                         ; persistent_matmul.py:43:59
	s_add_co_i32 s7, s4, s6
.Ltmp19:
	.loc	2 43 30                         ; standard.py:43:30 @[ persistent_matmul.py:33:25 ]
	s_add_co_i32 s3, s3, s5
.Ltmp20:
	.loc	1 43 59                         ; persistent_matmul.py:43:59
	s_mulk_i32 s7, 0x130
	.loc	1 47 41 is_stmt 1               ; persistent_matmul.py:47:41
	s_bfe_u32 s41, s15, 0x20006
.Ltmp21:
	.loc	2 43 30                         ; standard.py:43:30 @[ persistent_matmul.py:33:25 ]
	s_ashr_i32 s3, s3, 6
.Ltmp22:
	.loc	1 43 59 is_stmt 0               ; persistent_matmul.py:43:59
	s_cmp_lg_u32 s2, s7
                                        ; implicit-def: $vgpr241 : SGPR spill to VGPR lane
	s_clause 0x1
	s_load_b64 s[26:27], s[0:1], 0x24
	s_load_b64 s[28:29], s[0:1], 0x0
	s_cselect_b32 s5, -1, 0
	s_cmp_gt_i32 s2, -1
	v_dual_mov_b32 v4, 0 :: v_dual_and_b32 v149, 63, v1
	s_cselect_b32 s2, -1, 0
	s_delay_alu instid0(SALU_CYCLE_1)
	s_and_b32 s2, s2, s5
	s_add_co_ci_u32 s8, s4, s6
	s_max_i32 s42, s3, 1
	.loc	1 60 64 is_stmt 1               ; persistent_matmul.py:60:64
	v_cmp_gt_i32_e32 vcc_lo, s40, v149
	.loc	1 43 59                         ; persistent_matmul.py:43:59
	s_wait_alu depctr_sa_sdst(0)
	s_mul_i32 s8, s8, s42
	s_wait_alu depctr_sa_sdst(0)
	s_cmp_gt_i32 s8, 0
	s_cselect_b32 s16, -1, 0
.Ltmp23:
	.loc	1 10 26                         ; persistent_matmul.py:10:26 @[ persistent_matmul.py:44:88 ]
	s_abs_i32 s36, s35
	s_abs_i32 s5, ttmp9
	s_cvt_f32_u32 s2, s36
	s_sub_co_i32 s3, 0, s36
	s_ashr_i32 s6, s35, 31
.Ltmp24:
	.loc	1 57 79                         ; persistent_matmul.py:57:79
	s_wait_kmcnt 0x0
	v_mul_lo_u32 v35, s27, v149
.Ltmp25:
	.loc	1 10 26                         ; persistent_matmul.py:10:26 @[ persistent_matmul.py:44:88 ]
	v_rcp_iflag_f32_e32 v3, s2
	s_delay_alu instid0(TRANS32_DEP_1) | instskip(SKIP_2) | instid1(SALU_CYCLE_2)
	v_readfirstlane_b32 s2, v3
	s_mul_f32 s2, s2, 0x4f7ffffe
	s_wait_alu depctr_sa_sdst(0)
	s_cvt_u32_f32 s2, s2
	s_wait_alu depctr_sa_sdst(0)
	s_delay_alu instid0(SALU_CYCLE_2)
	s_mul_i32 s3, s3, s2
	s_wait_alu depctr_sa_sdst(0)
	s_mul_hi_u32 s3, s2, s3
	s_wait_alu depctr_sa_sdst(0)
	s_add_co_i32 s4, s2, s3
	s_ashr_i32 s3, ttmp9, 31
	s_mov_b32 s2, s4
	s_wait_alu depctr_sa_sdst(0)
	v_writelane_b32 v241, s2, 0
	v_writelane_b32 v241, s3, 1
	s_mul_hi_u32 s2, s5, s4
	s_wait_alu depctr_sa_sdst(0)
	s_mul_i32 s4, s2, s36
	s_add_co_i32 s7, s2, 1
	s_sub_co_i32 s4, s5, s4
	v_writelane_b32 v241, s6, 2
	s_xor_b32 s6, s3, s6
	s_sub_co_i32 s10, s4, s36
	s_cmp_ge_u32 s4, s36
	s_cselect_b32 s2, s7, s2
	s_cselect_b32 s4, s10, s4
	s_wait_alu depctr_sa_sdst(0)
	s_add_co_i32 s7, s2, 1
	s_cmp_ge_u32 s4, s36
	s_wait_alu depctr_sa_sdst(0)
	s_cselect_b32 s2, s7, s2
	s_wait_alu depctr_sa_sdst(0)
	s_xor_b32 s2, s2, s6
	s_wait_alu depctr_sa_sdst(0)
	s_sub_co_i32 s4, s2, s6
	s_delay_alu instid0(SALU_CYCLE_1)
	.loc	1 11 29                         ; persistent_matmul.py:11:29 @[ persistent_matmul.py:44:88 ]
	s_lshl_b32 s7, s4, 3
	.loc	1 12 35                         ; persistent_matmul.py:12:35 @[ persistent_matmul.py:44:88 ]
	s_wait_alu depctr_sa_sdst(0)
	s_sub_co_i32 s2, s33, s7
	.loc	1 12 48 is_stmt 0               ; persistent_matmul.py:12:48 @[ persistent_matmul.py:44:88 ]
	s_wait_alu depctr_sa_sdst(0)
	s_min_i32 s6, s2, 8
	.loc	1 13 37 is_stmt 1               ; persistent_matmul.py:13:37 @[ persistent_matmul.py:44:88 ]
	s_wait_alu depctr_sa_sdst(0)
	s_abs_i32 s10, s6
	s_delay_alu instid0(SALU_CYCLE_1) | instskip(SKIP_2) | instid1(SALU_CYCLE_1)
	s_cvt_f32_u32 s2, s10
	s_sub_co_i32 s11, 0, s10
	s_wait_alu depctr_sa_sdst(0)
	v_rcp_iflag_f32_e32 v3, s2
	s_delay_alu instid0(TRANS32_DEP_1) | instskip(SKIP_3) | instid1(SALU_CYCLE_2)
	v_readfirstlane_b32 s2, v3
	v_mov_b32_e32 v3, 0
	s_mul_f32 s2, s2, 0x4f7ffffe
	s_wait_alu depctr_sa_sdst(0)
	s_cvt_u32_f32 s2, s2
	s_wait_alu depctr_sa_sdst(0)
	s_delay_alu instid0(SALU_CYCLE_2) | instskip(NEXT) | instid1(SALU_CYCLE_1)
	s_mul_i32 s11, s11, s2
	s_mul_hi_u32 s11, s2, s11
	s_delay_alu instid0(SALU_CYCLE_1) | instskip(SKIP_2) | instid1(SALU_CYCLE_1)
	s_add_co_i32 s2, s2, s11
	s_wait_alu depctr_sa_sdst(0)
	s_mul_hi_u32 s11, s5, s2
	s_mul_i32 s11, s11, s10
	s_delay_alu instid0(SALU_CYCLE_1) | instskip(NEXT) | instid1(SALU_CYCLE_1)
	s_sub_co_i32 s5, s5, s11
	s_sub_co_i32 s11, s5, s10
	s_cmp_ge_u32 s5, s10
	s_cselect_b32 s5, s11, s5
	s_delay_alu instid0(SALU_CYCLE_1) | instskip(SKIP_2) | instid1(SALU_CYCLE_1)
	s_sub_co_i32 s11, s5, s10
	s_cmp_ge_u32 s5, s10
	s_cselect_b32 s5, s11, s5
	s_xor_b32 s5, s5, s3
	s_delay_alu instid0(SALU_CYCLE_1)
	s_sub_co_i32 s3, s5, s3
	.loc	1 13 27 is_stmt 0               ; persistent_matmul.py:13:27 @[ persistent_matmul.py:44:88 ]
	s_wait_alu depctr_sa_sdst(0)
	s_add_co_i32 s7, s7, s3
.Ltmp26:
	.loc	1 45 26 is_stmt 1               ; persistent_matmul.py:45:26
	s_wait_alu depctr_sa_sdst(0)
	s_lshl_b32 s7, s7, 7
	.loc	1 47 28                         ; persistent_matmul.py:47:28
	s_wait_alu depctr_sa_sdst(0)
	s_or_b32 s3, s7, s41
	.loc	1 49 37                         ; persistent_matmul.py:49:37
	s_wait_alu depctr_sa_sdst(0)
	s_cmp_lt_i32 s3, s22
	.loc	1 49 49 is_stmt 0               ; persistent_matmul.py:49:49
	s_cselect_b32 s5, s3, 0
	s_mov_b32 s3, 0
	.loc	1 57 49 is_stmt 1               ; persistent_matmul.py:57:49
	s_mul_i32 s5, s5, s26
	.loc	1 43 59                         ; persistent_matmul.py:43:59
	s_and_b32 s11, vcc_lo, s16
	v_writelane_b32 v241, s5, 3
	.loc	1 60 24                         ; persistent_matmul.py:60:24
	s_and_saveexec_b32 s5, s11
	s_cbranch_execz .LBB0_3
; %bb.2:
	.loc	1 0 24 is_stmt 0                ; persistent_matmul.py:0:24
	s_delay_alu instid0(VALU_DEP_1) | instskip(NEXT) | instid1(VALU_DEP_1)
	v_readlane_b32 s12, v241, 3
	v_add_nc_u32_e32 v4, s12, v35
	s_delay_alu instid0(VALU_DEP_1) | instskip(NEXT) | instid1(VALU_DEP_1)
	v_ashrrev_i32_e32 v5, 31, v4
	v_lshlrev_b64_e32 v[4:5], 1, v[4:5]
	s_delay_alu instid0(VALU_DEP_1) | instskip(NEXT) | instid1(VALU_DEP_1)
	v_add_co_u32 v4, vcc_lo, s28, v4
	v_add_co_ci_u32_e64 v5, null, s29, v5, vcc_lo
	.loc	1 60 24                         ; persistent_matmul.py:60:24
	global_load_u16 v4, v[4:5], off
.LBB0_3:
	.loc	1 0 24                          ; persistent_matmul.py:0:24
	s_wait_alu depctr_sa_sdst(0)
	s_or_b32 exec_lo, exec_lo, s5
	.loc	1 47 41 is_stmt 1               ; persistent_matmul.py:47:41
	s_or_b32 s5, s41, 4
	s_wait_alu depctr_sa_sdst(0)
	v_writelane_b32 v241, s5, 4
	.loc	1 47 28 is_stmt 0               ; persistent_matmul.py:47:28
	s_or_b32 s5, s7, s5
	.loc	1 49 37 is_stmt 1               ; persistent_matmul.py:49:37
	s_wait_alu depctr_sa_sdst(0)
	s_cmp_lt_i32 s5, s22
	.loc	1 49 49 is_stmt 0               ; persistent_matmul.py:49:49
	s_cselect_b32 s5, s5, 0
	.loc	1 57 49 is_stmt 1               ; persistent_matmul.py:57:49
	s_wait_alu depctr_sa_sdst(0)
	s_mul_i32 s5, s5, s26
	.loc	1 60 24                         ; persistent_matmul.py:60:24
	s_wait_alu depctr_sa_sdst(0)
	v_writelane_b32 v241, s5, 5
	s_and_saveexec_b32 s5, s11
	s_cbranch_execz .LBB0_5
; %bb.4:
	.loc	1 0 24 is_stmt 0                ; persistent_matmul.py:0:24
	s_delay_alu instid0(VALU_DEP_1) | instskip(SKIP_1) | instid1(VALU_DEP_1)
	.loc	1 57 61 is_stmt 1               ; persistent_matmul.py:57:61
	v_readlane_b32 s12, v241, 5
	s_wait_alu depctr_va_sdst(0)
	v_add_nc_u32_e32 v5, s12, v35
	s_delay_alu instid0(VALU_DEP_1) | instskip(NEXT) | instid1(VALU_DEP_1)
	.loc	1 57 30 is_stmt 0               ; persistent_matmul.py:57:30
	v_ashrrev_i32_e32 v6, 31, v5
	v_lshlrev_b64_e32 v[5:6], 1, v[5:6]
	s_delay_alu instid0(VALU_DEP_1) | instskip(SKIP_1) | instid1(VALU_DEP_2)
	v_add_co_u32 v5, vcc_lo, s28, v5
	s_wait_alu depctr_va_vcc(0)
	v_add_co_ci_u32_e64 v6, null, s29, v6, vcc_lo
	.loc	1 60 24 is_stmt 1               ; persistent_matmul.py:60:24
	global_load_u16 v3, v[5:6], off
.LBB0_5:
	.loc	1 0 24 is_stmt 0                ; persistent_matmul.py:0:24
	s_wait_alu depctr_sa_sdst(0)
	s_or_b32 exec_lo, exec_lo, s5
	.loc	1 47 41 is_stmt 1               ; persistent_matmul.py:47:41
	s_or_b32 s5, s41, 8
	v_dual_mov_b32 v5, 0 :: v_dual_mov_b32 v6, 0
	s_wait_alu depctr_sa_sdst(0)
	v_writelane_b32 v241, s5, 6
	.loc	1 47 28 is_stmt 0               ; persistent_matmul.py:47:28
	s_or_b32 s5, s7, s5
	.loc	1 49 37 is_stmt 1               ; persistent_matmul.py:49:37
	s_wait_alu depctr_sa_sdst(0)
	s_cmp_lt_i32 s5, s22
	.loc	1 49 49 is_stmt 0               ; persistent_matmul.py:49:49
	s_cselect_b32 s5, s5, 0
	.loc	1 57 49 is_stmt 1               ; persistent_matmul.py:57:49
	s_wait_alu depctr_sa_sdst(0)
	s_mul_i32 s5, s5, s26
	.loc	1 60 24                         ; persistent_matmul.py:60:24
	s_wait_alu depctr_sa_sdst(0)
	v_writelane_b32 v241, s5, 7
	s_and_saveexec_b32 s5, s11
	s_cbranch_execz .LBB0_7
; %bb.6:
	.loc	1 0 24 is_stmt 0                ; persistent_matmul.py:0:24
	s_delay_alu instid0(VALU_DEP_1) | instskip(SKIP_1) | instid1(VALU_DEP_1)
	.loc	1 57 61 is_stmt 1               ; persistent_matmul.py:57:61
	v_readlane_b32 s12, v241, 7
	s_wait_alu depctr_va_sdst(0)
	v_add_nc_u32_e32 v6, s12, v35
	s_delay_alu instid0(VALU_DEP_1) | instskip(NEXT) | instid1(VALU_DEP_1)
	.loc	1 57 30 is_stmt 0               ; persistent_matmul.py:57:30
	v_ashrrev_i32_e32 v7, 31, v6
	v_lshlrev_b64_e32 v[6:7], 1, v[6:7]
	s_delay_alu instid0(VALU_DEP_1) | instskip(SKIP_1) | instid1(VALU_DEP_2)
	v_add_co_u32 v6, vcc_lo, s28, v6
	s_wait_alu depctr_va_vcc(0)
	v_add_co_ci_u32_e64 v7, null, s29, v7, vcc_lo
	.loc	1 60 24 is_stmt 1               ; persistent_matmul.py:60:24
	global_load_u16 v6, v[6:7], off
.LBB0_7:
	.loc	1 0 24 is_stmt 0                ; persistent_matmul.py:0:24
	s_wait_alu depctr_sa_sdst(0)
	s_or_b32 exec_lo, exec_lo, s5
	.loc	1 47 41 is_stmt 1               ; persistent_matmul.py:47:41
	s_or_b32 s5, s41, 12
	s_wait_alu depctr_sa_sdst(0)
	v_writelane_b32 v241, s5, 8
	.loc	1 47 28 is_stmt 0               ; persistent_matmul.py:47:28
	s_or_b32 s5, s7, s5
	.loc	1 49 37 is_stmt 1               ; persistent_matmul.py:49:37
	s_wait_alu depctr_sa_sdst(0)
	s_cmp_lt_i32 s5, s22
	.loc	1 49 49 is_stmt 0               ; persistent_matmul.py:49:49
	s_cselect_b32 s5, s5, 0
	.loc	1 57 49 is_stmt 1               ; persistent_matmul.py:57:49
	s_wait_alu depctr_sa_sdst(0)
	s_mul_i32 s5, s5, s26
	.loc	1 60 24                         ; persistent_matmul.py:60:24
	s_wait_alu depctr_sa_sdst(0)
	v_writelane_b32 v241, s5, 9
	s_and_saveexec_b32 s5, s11
	s_cbranch_execz .LBB0_9
; %bb.8:
	.loc	1 0 24 is_stmt 0                ; persistent_matmul.py:0:24
	s_delay_alu instid0(VALU_DEP_1) | instskip(SKIP_1) | instid1(VALU_DEP_1)
	.loc	1 57 61 is_stmt 1               ; persistent_matmul.py:57:61
	v_readlane_b32 s12, v241, 9
	s_wait_alu depctr_va_sdst(0)
	v_add_nc_u32_e32 v7, s12, v35
	s_delay_alu instid0(VALU_DEP_1) | instskip(NEXT) | instid1(VALU_DEP_1)
	.loc	1 57 30 is_stmt 0               ; persistent_matmul.py:57:30
	v_ashrrev_i32_e32 v8, 31, v7
	v_lshlrev_b64_e32 v[7:8], 1, v[7:8]
	s_delay_alu instid0(VALU_DEP_1) | instskip(SKIP_1) | instid1(VALU_DEP_2)
	v_add_co_u32 v7, vcc_lo, s28, v7
	s_wait_alu depctr_va_vcc(0)
	v_add_co_ci_u32_e64 v8, null, s29, v8, vcc_lo
	.loc	1 60 24 is_stmt 1               ; persistent_matmul.py:60:24
	global_load_u16 v5, v[7:8], off
.LBB0_9:
	.loc	1 0 24 is_stmt 0                ; persistent_matmul.py:0:24
	s_wait_alu depctr_sa_sdst(0)
	s_or_b32 exec_lo, exec_lo, s5
	.loc	1 47 41 is_stmt 1               ; persistent_matmul.py:47:41
	s_or_b32 s5, s41, 16
	v_dual_mov_b32 v7, 0 :: v_dual_mov_b32 v8, 0
	s_wait_alu depctr_sa_sdst(0)
	v_writelane_b32 v241, s5, 10
	.loc	1 47 28 is_stmt 0               ; persistent_matmul.py:47:28
	s_or_b32 s5, s7, s5
	.loc	1 49 37 is_stmt 1               ; persistent_matmul.py:49:37
	s_wait_alu depctr_sa_sdst(0)
	s_cmp_lt_i32 s5, s22
	.loc	1 49 49 is_stmt 0               ; persistent_matmul.py:49:49
	s_cselect_b32 s5, s5, 0
	.loc	1 57 49 is_stmt 1               ; persistent_matmul.py:57:49
	s_wait_alu depctr_sa_sdst(0)
	s_mul_i32 s5, s5, s26
	.loc	1 60 24                         ; persistent_matmul.py:60:24
	s_wait_alu depctr_sa_sdst(0)
	v_writelane_b32 v241, s5, 11
	s_and_saveexec_b32 s5, s11
	s_cbranch_execz .LBB0_11
; %bb.10:
	.loc	1 0 24 is_stmt 0                ; persistent_matmul.py:0:24
	s_delay_alu instid0(VALU_DEP_1) | instskip(SKIP_1) | instid1(VALU_DEP_1)
	.loc	1 57 61 is_stmt 1               ; persistent_matmul.py:57:61
	v_readlane_b32 s12, v241, 11
	s_wait_alu depctr_va_sdst(0)
	v_add_nc_u32_e32 v8, s12, v35
	s_delay_alu instid0(VALU_DEP_1) | instskip(NEXT) | instid1(VALU_DEP_1)
	.loc	1 57 30 is_stmt 0               ; persistent_matmul.py:57:30
	v_ashrrev_i32_e32 v9, 31, v8
	v_lshlrev_b64_e32 v[8:9], 1, v[8:9]
	s_delay_alu instid0(VALU_DEP_1) | instskip(SKIP_1) | instid1(VALU_DEP_2)
	v_add_co_u32 v8, vcc_lo, s28, v8
	s_wait_alu depctr_va_vcc(0)
	v_add_co_ci_u32_e64 v9, null, s29, v9, vcc_lo
	.loc	1 60 24 is_stmt 1               ; persistent_matmul.py:60:24
	global_load_u16 v8, v[8:9], off
.LBB0_11:
	.loc	1 0 24 is_stmt 0                ; persistent_matmul.py:0:24
	s_wait_alu depctr_sa_sdst(0)
	s_or_b32 exec_lo, exec_lo, s5
	.loc	1 47 41 is_stmt 1               ; persistent_matmul.py:47:41
	s_or_b32 s5, s41, 20
	s_wait_alu depctr_sa_sdst(0)
	v_writelane_b32 v241, s5, 12
	.loc	1 47 28 is_stmt 0               ; persistent_matmul.py:47:28
	s_or_b32 s5, s7, s5
	.loc	1 49 37 is_stmt 1               ; persistent_matmul.py:49:37
	s_wait_alu depctr_sa_sdst(0)
	s_cmp_lt_i32 s5, s22
	.loc	1 49 49 is_stmt 0               ; persistent_matmul.py:49:49
	s_cselect_b32 s5, s5, 0
	.loc	1 57 49 is_stmt 1               ; persistent_matmul.py:57:49
	s_wait_alu depctr_sa_sdst(0)
	s_mul_i32 s60, s5, s26
	.loc	1 60 24                         ; persistent_matmul.py:60:24
	s_and_saveexec_b32 s5, s11
	s_cbranch_execz .LBB0_13
; %bb.12:
	.loc	1 57 61                         ; persistent_matmul.py:57:61
	v_add_nc_u32_e32 v9, s60, v35
	s_delay_alu instid0(VALU_DEP_1) | instskip(NEXT) | instid1(VALU_DEP_1)
	.loc	1 57 30 is_stmt 0               ; persistent_matmul.py:57:30
	v_ashrrev_i32_e32 v10, 31, v9
	v_lshlrev_b64_e32 v[9:10], 1, v[9:10]
	s_delay_alu instid0(VALU_DEP_1) | instskip(SKIP_1) | instid1(VALU_DEP_2)
	v_add_co_u32 v9, vcc_lo, s28, v9
	s_wait_alu depctr_va_vcc(0)
	v_add_co_ci_u32_e64 v10, null, s29, v10, vcc_lo
	.loc	1 60 24 is_stmt 1               ; persistent_matmul.py:60:24
	global_load_u16 v7, v[9:10], off
.LBB0_13:
	.loc	1 0 24 is_stmt 0                ; persistent_matmul.py:0:24
	s_wait_alu depctr_sa_sdst(0)
	s_or_b32 exec_lo, exec_lo, s5
	.loc	1 47 41 is_stmt 1               ; persistent_matmul.py:47:41
	s_or_b32 s5, s41, 24
	v_dual_mov_b32 v9, 0 :: v_dual_mov_b32 v10, 0
	s_wait_alu depctr_sa_sdst(0)
	v_writelane_b32 v241, s5, 13
	.loc	1 47 28 is_stmt 0               ; persistent_matmul.py:47:28
	s_or_b32 s5, s7, s5
	.loc	1 49 37 is_stmt 1               ; persistent_matmul.py:49:37
	s_wait_alu depctr_sa_sdst(0)
	s_cmp_lt_i32 s5, s22
	.loc	1 49 49 is_stmt 0               ; persistent_matmul.py:49:49
	s_cselect_b32 s5, s5, 0
	.loc	1 57 49 is_stmt 1               ; persistent_matmul.py:57:49
	s_wait_alu depctr_sa_sdst(0)
	s_mul_i32 s63, s5, s26
	.loc	1 60 24                         ; persistent_matmul.py:60:24
	s_and_saveexec_b32 s5, s11
	s_cbranch_execz .LBB0_15
; %bb.14:
	.loc	1 57 61                         ; persistent_matmul.py:57:61
	v_add_nc_u32_e32 v10, s63, v35
	s_delay_alu instid0(VALU_DEP_1) | instskip(NEXT) | instid1(VALU_DEP_1)
	.loc	1 57 30 is_stmt 0               ; persistent_matmul.py:57:30
	v_ashrrev_i32_e32 v11, 31, v10
	v_lshlrev_b64_e32 v[10:11], 1, v[10:11]
	s_delay_alu instid0(VALU_DEP_1) | instskip(SKIP_1) | instid1(VALU_DEP_2)
	v_add_co_u32 v10, vcc_lo, s28, v10
	s_wait_alu depctr_va_vcc(0)
	v_add_co_ci_u32_e64 v11, null, s29, v11, vcc_lo
	.loc	1 60 24 is_stmt 1               ; persistent_matmul.py:60:24
	global_load_u16 v10, v[10:11], off
.LBB0_15:
	.loc	1 0 24 is_stmt 0                ; persistent_matmul.py:0:24
	s_wait_alu depctr_sa_sdst(0)
	s_or_b32 exec_lo, exec_lo, s5
	.loc	1 47 41 is_stmt 1               ; persistent_matmul.py:47:41
	s_or_b32 s5, s41, 28
	s_wait_alu depctr_sa_sdst(0)
	v_writelane_b32 v241, s5, 14
	.loc	1 47 28 is_stmt 0               ; persistent_matmul.py:47:28
	s_or_b32 s5, s7, s5
	.loc	1 49 37 is_stmt 1               ; persistent_matmul.py:49:37
	s_wait_alu depctr_sa_sdst(0)
	s_cmp_lt_i32 s5, s22
	.loc	1 49 49 is_stmt 0               ; persistent_matmul.py:49:49
	s_cselect_b32 s5, s5, 0
	.loc	1 57 49 is_stmt 1               ; persistent_matmul.py:57:49
	s_wait_alu depctr_sa_sdst(0)
	s_mul_i32 s65, s5, s26
	.loc	1 60 24                         ; persistent_matmul.py:60:24
	s_and_saveexec_b32 s5, s11
	s_cbranch_execz .LBB0_17
; %bb.16:
	.loc	1 57 61                         ; persistent_matmul.py:57:61
	v_add_nc_u32_e32 v11, s65, v35
	s_delay_alu instid0(VALU_DEP_1) | instskip(NEXT) | instid1(VALU_DEP_1)
	.loc	1 57 30 is_stmt 0               ; persistent_matmul.py:57:30
	v_ashrrev_i32_e32 v12, 31, v11
	v_lshlrev_b64_e32 v[11:12], 1, v[11:12]
	s_delay_alu instid0(VALU_DEP_1) | instskip(SKIP_1) | instid1(VALU_DEP_2)
	v_add_co_u32 v11, vcc_lo, s28, v11
	s_wait_alu depctr_va_vcc(0)
	v_add_co_ci_u32_e64 v12, null, s29, v12, vcc_lo
	.loc	1 60 24 is_stmt 1               ; persistent_matmul.py:60:24
	global_load_u16 v9, v[11:12], off
.LBB0_17:
	.loc	1 0 24 is_stmt 0                ; persistent_matmul.py:0:24
	s_wait_alu depctr_sa_sdst(0)
	s_or_b32 exec_lo, exec_lo, s5
	.loc	1 47 41 is_stmt 1               ; persistent_matmul.py:47:41
	s_or_b32 s5, s41, 32
	v_dual_mov_b32 v11, 0 :: v_dual_mov_b32 v12, 0
	s_wait_alu depctr_sa_sdst(0)
	v_writelane_b32 v241, s5, 15
	.loc	1 47 28 is_stmt 0               ; persistent_matmul.py:47:28
	s_or_b32 s5, s7, s5
	.loc	1 49 37 is_stmt 1               ; persistent_matmul.py:49:37
	s_wait_alu depctr_sa_sdst(0)
	s_cmp_lt_i32 s5, s22
	.loc	1 49 49 is_stmt 0               ; persistent_matmul.py:49:49
	s_cselect_b32 s5, s5, 0
	.loc	1 57 49 is_stmt 1               ; persistent_matmul.py:57:49
	s_wait_alu depctr_sa_sdst(0)
	s_mul_i32 s67, s5, s26
	.loc	1 60 24                         ; persistent_matmul.py:60:24
	s_and_saveexec_b32 s5, s11
	s_cbranch_execz .LBB0_19
; %bb.18:
	.loc	1 57 61                         ; persistent_matmul.py:57:61
	v_add_nc_u32_e32 v12, s67, v35
	s_delay_alu instid0(VALU_DEP_1) | instskip(NEXT) | instid1(VALU_DEP_1)
	.loc	1 57 30 is_stmt 0               ; persistent_matmul.py:57:30
	v_ashrrev_i32_e32 v13, 31, v12
	v_lshlrev_b64_e32 v[12:13], 1, v[12:13]
	s_delay_alu instid0(VALU_DEP_1) | instskip(SKIP_1) | instid1(VALU_DEP_2)
	v_add_co_u32 v12, vcc_lo, s28, v12
	s_wait_alu depctr_va_vcc(0)
	v_add_co_ci_u32_e64 v13, null, s29, v13, vcc_lo
	.loc	1 60 24 is_stmt 1               ; persistent_matmul.py:60:24
	global_load_u16 v12, v[12:13], off
.LBB0_19:
	.loc	1 0 24 is_stmt 0                ; persistent_matmul.py:0:24
	s_wait_alu depctr_sa_sdst(0)
	s_or_b32 exec_lo, exec_lo, s5
	.loc	1 47 41 is_stmt 1               ; persistent_matmul.py:47:41
	s_or_b32 s5, s41, 36
	s_wait_alu depctr_sa_sdst(0)
	v_writelane_b32 v241, s5, 16
	.loc	1 47 28 is_stmt 0               ; persistent_matmul.py:47:28
	s_or_b32 s5, s7, s5
	.loc	1 49 37 is_stmt 1               ; persistent_matmul.py:49:37
	s_wait_alu depctr_sa_sdst(0)
	s_cmp_lt_i32 s5, s22
	.loc	1 49 49 is_stmt 0               ; persistent_matmul.py:49:49
	s_cselect_b32 s5, s5, 0
	.loc	1 57 49 is_stmt 1               ; persistent_matmul.py:57:49
	s_wait_alu depctr_sa_sdst(0)
	s_mul_i32 s69, s5, s26
	.loc	1 60 24                         ; persistent_matmul.py:60:24
	s_and_saveexec_b32 s5, s11
	s_cbranch_execz .LBB0_21
; %bb.20:
	.loc	1 57 61                         ; persistent_matmul.py:57:61
	v_add_nc_u32_e32 v13, s69, v35
	s_delay_alu instid0(VALU_DEP_1) | instskip(NEXT) | instid1(VALU_DEP_1)
	.loc	1 57 30 is_stmt 0               ; persistent_matmul.py:57:30
	v_ashrrev_i32_e32 v14, 31, v13
	v_lshlrev_b64_e32 v[13:14], 1, v[13:14]
	s_delay_alu instid0(VALU_DEP_1) | instskip(SKIP_1) | instid1(VALU_DEP_2)
	v_add_co_u32 v13, vcc_lo, s28, v13
	s_wait_alu depctr_va_vcc(0)
	v_add_co_ci_u32_e64 v14, null, s29, v14, vcc_lo
	.loc	1 60 24 is_stmt 1               ; persistent_matmul.py:60:24
	global_load_u16 v11, v[13:14], off
.LBB0_21:
	.loc	1 0 24 is_stmt 0                ; persistent_matmul.py:0:24
	s_wait_alu depctr_sa_sdst(0)
	s_or_b32 exec_lo, exec_lo, s5
	.loc	1 47 41 is_stmt 1               ; persistent_matmul.py:47:41
	s_or_b32 s5, s41, 40
	v_dual_mov_b32 v13, 0 :: v_dual_mov_b32 v14, 0
	s_wait_alu depctr_sa_sdst(0)
	v_writelane_b32 v241, s5, 17
	.loc	1 47 28 is_stmt 0               ; persistent_matmul.py:47:28
	s_or_b32 s5, s7, s5
	.loc	1 49 37 is_stmt 1               ; persistent_matmul.py:49:37
	s_wait_alu depctr_sa_sdst(0)
	s_cmp_lt_i32 s5, s22
	.loc	1 49 49 is_stmt 0               ; persistent_matmul.py:49:49
	s_cselect_b32 s5, s5, 0
	.loc	1 57 49 is_stmt 1               ; persistent_matmul.py:57:49
	s_wait_alu depctr_sa_sdst(0)
	s_mul_i32 s71, s5, s26
	.loc	1 60 24                         ; persistent_matmul.py:60:24
	s_and_saveexec_b32 s5, s11
	s_cbranch_execz .LBB0_23
; %bb.22:
	.loc	1 57 61                         ; persistent_matmul.py:57:61
	v_add_nc_u32_e32 v14, s71, v35
	s_delay_alu instid0(VALU_DEP_1) | instskip(NEXT) | instid1(VALU_DEP_1)
	.loc	1 57 30 is_stmt 0               ; persistent_matmul.py:57:30
	v_ashrrev_i32_e32 v15, 31, v14
	v_lshlrev_b64_e32 v[14:15], 1, v[14:15]
	s_delay_alu instid0(VALU_DEP_1) | instskip(SKIP_1) | instid1(VALU_DEP_2)
	v_add_co_u32 v14, vcc_lo, s28, v14
	s_wait_alu depctr_va_vcc(0)
	v_add_co_ci_u32_e64 v15, null, s29, v15, vcc_lo
	.loc	1 60 24 is_stmt 1               ; persistent_matmul.py:60:24
	global_load_u16 v14, v[14:15], off
.LBB0_23:
	.loc	1 0 24 is_stmt 0                ; persistent_matmul.py:0:24
	s_wait_alu depctr_sa_sdst(0)
	s_or_b32 exec_lo, exec_lo, s5
	.loc	1 47 41 is_stmt 1               ; persistent_matmul.py:47:41
	s_or_b32 s5, s41, 44
	s_wait_alu depctr_sa_sdst(0)
	v_writelane_b32 v241, s5, 18
	.loc	1 47 28 is_stmt 0               ; persistent_matmul.py:47:28
	s_or_b32 s5, s7, s5
	.loc	1 49 37 is_stmt 1               ; persistent_matmul.py:49:37
	s_wait_alu depctr_sa_sdst(0)
	s_cmp_lt_i32 s5, s22
	.loc	1 49 49 is_stmt 0               ; persistent_matmul.py:49:49
	s_cselect_b32 s5, s5, 0
	.loc	1 57 49 is_stmt 1               ; persistent_matmul.py:57:49
	s_wait_alu depctr_sa_sdst(0)
	s_mul_i32 s73, s5, s26
	.loc	1 60 24                         ; persistent_matmul.py:60:24
	s_and_saveexec_b32 s5, s11
	s_cbranch_execz .LBB0_25
; %bb.24:
	.loc	1 57 61                         ; persistent_matmul.py:57:61
	v_add_nc_u32_e32 v15, s73, v35
	s_delay_alu instid0(VALU_DEP_1) | instskip(NEXT) | instid1(VALU_DEP_1)
	.loc	1 57 30 is_stmt 0               ; persistent_matmul.py:57:30
	v_ashrrev_i32_e32 v16, 31, v15
	v_lshlrev_b64_e32 v[15:16], 1, v[15:16]
	s_delay_alu instid0(VALU_DEP_1) | instskip(SKIP_1) | instid1(VALU_DEP_2)
	v_add_co_u32 v15, vcc_lo, s28, v15
	s_wait_alu depctr_va_vcc(0)
	v_add_co_ci_u32_e64 v16, null, s29, v16, vcc_lo
	.loc	1 60 24 is_stmt 1               ; persistent_matmul.py:60:24
	global_load_u16 v13, v[15:16], off
.LBB0_25:
	.loc	1 0 24 is_stmt 0                ; persistent_matmul.py:0:24
	s_wait_alu depctr_sa_sdst(0)
	s_or_b32 exec_lo, exec_lo, s5
	.loc	1 47 41 is_stmt 1               ; persistent_matmul.py:47:41
	s_or_b32 s5, s41, 48
	v_dual_mov_b32 v15, 0 :: v_dual_mov_b32 v16, 0
	s_wait_alu depctr_sa_sdst(0)
	v_writelane_b32 v241, s5, 19
	.loc	1 47 28 is_stmt 0               ; persistent_matmul.py:47:28
	s_or_b32 s5, s7, s5
	.loc	1 49 37 is_stmt 1               ; persistent_matmul.py:49:37
	s_wait_alu depctr_sa_sdst(0)
	s_cmp_lt_i32 s5, s22
	.loc	1 49 49 is_stmt 0               ; persistent_matmul.py:49:49
	s_cselect_b32 s5, s5, 0
	.loc	1 57 49 is_stmt 1               ; persistent_matmul.py:57:49
	s_wait_alu depctr_sa_sdst(0)
	s_mul_i32 s75, s5, s26
	.loc	1 60 24                         ; persistent_matmul.py:60:24
	s_and_saveexec_b32 s5, s11
	s_cbranch_execz .LBB0_27
; %bb.26:
	.loc	1 57 61                         ; persistent_matmul.py:57:61
	v_add_nc_u32_e32 v16, s75, v35
	s_delay_alu instid0(VALU_DEP_1) | instskip(NEXT) | instid1(VALU_DEP_1)
	.loc	1 57 30 is_stmt 0               ; persistent_matmul.py:57:30
	v_ashrrev_i32_e32 v17, 31, v16
	v_lshlrev_b64_e32 v[16:17], 1, v[16:17]
	s_delay_alu instid0(VALU_DEP_1) | instskip(SKIP_1) | instid1(VALU_DEP_2)
	v_add_co_u32 v16, vcc_lo, s28, v16
	s_wait_alu depctr_va_vcc(0)
	v_add_co_ci_u32_e64 v17, null, s29, v17, vcc_lo
	.loc	1 60 24 is_stmt 1               ; persistent_matmul.py:60:24
	global_load_u16 v16, v[16:17], off
.LBB0_27:
	.loc	1 0 24 is_stmt 0                ; persistent_matmul.py:0:24
	s_wait_alu depctr_sa_sdst(0)
	s_or_b32 exec_lo, exec_lo, s5
	.loc	1 47 41 is_stmt 1               ; persistent_matmul.py:47:41
	s_or_b32 s5, s41, 52
	s_wait_alu depctr_sa_sdst(0)
	v_writelane_b32 v241, s5, 20
	.loc	1 47 28 is_stmt 0               ; persistent_matmul.py:47:28
	s_or_b32 s5, s7, s5
	.loc	1 49 37 is_stmt 1               ; persistent_matmul.py:49:37
	s_wait_alu depctr_sa_sdst(0)
	s_cmp_lt_i32 s5, s22
	.loc	1 49 49 is_stmt 0               ; persistent_matmul.py:49:49
	s_cselect_b32 s5, s5, 0
	.loc	1 57 49 is_stmt 1               ; persistent_matmul.py:57:49
	s_wait_alu depctr_sa_sdst(0)
	s_mul_i32 s77, s5, s26
	.loc	1 60 24                         ; persistent_matmul.py:60:24
	s_and_saveexec_b32 s5, s11
	s_cbranch_execz .LBB0_29
; %bb.28:
	.loc	1 57 61                         ; persistent_matmul.py:57:61
	v_add_nc_u32_e32 v17, s77, v35
	s_delay_alu instid0(VALU_DEP_1) | instskip(NEXT) | instid1(VALU_DEP_1)
	.loc	1 57 30 is_stmt 0               ; persistent_matmul.py:57:30
	v_ashrrev_i32_e32 v18, 31, v17
	v_lshlrev_b64_e32 v[17:18], 1, v[17:18]
	s_delay_alu instid0(VALU_DEP_1) | instskip(SKIP_1) | instid1(VALU_DEP_2)
	v_add_co_u32 v17, vcc_lo, s28, v17
	s_wait_alu depctr_va_vcc(0)
	v_add_co_ci_u32_e64 v18, null, s29, v18, vcc_lo
	.loc	1 60 24 is_stmt 1               ; persistent_matmul.py:60:24
	global_load_u16 v15, v[17:18], off
.LBB0_29:
	.loc	1 0 24 is_stmt 0                ; persistent_matmul.py:0:24
	s_wait_alu depctr_sa_sdst(0)
	s_or_b32 exec_lo, exec_lo, s5
	.loc	1 47 41 is_stmt 1               ; persistent_matmul.py:47:41
	s_or_b32 s5, s41, 56
	v_dual_mov_b32 v17, 0 :: v_dual_mov_b32 v18, 0
	s_wait_alu depctr_sa_sdst(0)
	v_writelane_b32 v241, s5, 21
	.loc	1 47 28 is_stmt 0               ; persistent_matmul.py:47:28
	s_or_b32 s5, s7, s5
	.loc	1 49 37 is_stmt 1               ; persistent_matmul.py:49:37
	s_wait_alu depctr_sa_sdst(0)
	s_cmp_lt_i32 s5, s22
	.loc	1 49 49 is_stmt 0               ; persistent_matmul.py:49:49
	s_cselect_b32 s5, s5, 0
	.loc	1 57 49 is_stmt 1               ; persistent_matmul.py:57:49
	s_wait_alu depctr_sa_sdst(0)
	s_mul_i32 s79, s5, s26
	.loc	1 60 24                         ; persistent_matmul.py:60:24
	s_and_saveexec_b32 s5, s11
	s_cbranch_execz .LBB0_31
; %bb.30:
	.loc	1 57 61                         ; persistent_matmul.py:57:61
	v_add_nc_u32_e32 v18, s79, v35
	s_delay_alu instid0(VALU_DEP_1) | instskip(NEXT) | instid1(VALU_DEP_1)
	.loc	1 57 30 is_stmt 0               ; persistent_matmul.py:57:30
	v_ashrrev_i32_e32 v19, 31, v18
	v_lshlrev_b64_e32 v[18:19], 1, v[18:19]
	s_delay_alu instid0(VALU_DEP_1) | instskip(SKIP_1) | instid1(VALU_DEP_2)
	v_add_co_u32 v18, vcc_lo, s28, v18
	s_wait_alu depctr_va_vcc(0)
	v_add_co_ci_u32_e64 v19, null, s29, v19, vcc_lo
	.loc	1 60 24 is_stmt 1               ; persistent_matmul.py:60:24
	global_load_u16 v18, v[18:19], off
.LBB0_31:
	.loc	1 0 24 is_stmt 0                ; persistent_matmul.py:0:24
	s_wait_alu depctr_sa_sdst(0)
	s_or_b32 exec_lo, exec_lo, s5
	.loc	1 47 41 is_stmt 1               ; persistent_matmul.py:47:41
	s_or_b32 s5, s41, 60
	s_wait_alu depctr_sa_sdst(0)
	v_writelane_b32 v241, s5, 22
	.loc	1 47 28 is_stmt 0               ; persistent_matmul.py:47:28
	s_or_b32 s5, s7, s5
	.loc	1 49 37 is_stmt 1               ; persistent_matmul.py:49:37
	s_wait_alu depctr_sa_sdst(0)
	s_cmp_lt_i32 s5, s22
	.loc	1 49 49 is_stmt 0               ; persistent_matmul.py:49:49
	s_cselect_b32 s5, s5, 0
	.loc	1 57 49 is_stmt 1               ; persistent_matmul.py:57:49
	s_wait_alu depctr_sa_sdst(0)
	s_mul_i32 s81, s5, s26
	.loc	1 60 24                         ; persistent_matmul.py:60:24
	s_and_saveexec_b32 s5, s11
	s_cbranch_execz .LBB0_33
; %bb.32:
	.loc	1 57 61                         ; persistent_matmul.py:57:61
	v_add_nc_u32_e32 v19, s81, v35
	s_delay_alu instid0(VALU_DEP_1) | instskip(NEXT) | instid1(VALU_DEP_1)
	.loc	1 57 30 is_stmt 0               ; persistent_matmul.py:57:30
	v_ashrrev_i32_e32 v20, 31, v19
	v_lshlrev_b64_e32 v[19:20], 1, v[19:20]
	s_delay_alu instid0(VALU_DEP_1) | instskip(SKIP_1) | instid1(VALU_DEP_2)
	v_add_co_u32 v19, vcc_lo, s28, v19
	s_wait_alu depctr_va_vcc(0)
	v_add_co_ci_u32_e64 v20, null, s29, v20, vcc_lo
	.loc	1 60 24 is_stmt 1               ; persistent_matmul.py:60:24
	global_load_u16 v17, v[19:20], off
.LBB0_33:
	.loc	1 0 24 is_stmt 0                ; persistent_matmul.py:0:24
	s_wait_alu depctr_sa_sdst(0)
	s_or_b32 exec_lo, exec_lo, s5
	.loc	1 47 41 is_stmt 1               ; persistent_matmul.py:47:41
	s_or_b32 s5, s41, 64
	v_dual_mov_b32 v19, 0 :: v_dual_mov_b32 v20, 0
	s_wait_alu depctr_sa_sdst(0)
	v_writelane_b32 v241, s5, 23
	.loc	1 47 28 is_stmt 0               ; persistent_matmul.py:47:28
	s_or_b32 s5, s7, s5
	.loc	1 49 37 is_stmt 1               ; persistent_matmul.py:49:37
	s_wait_alu depctr_sa_sdst(0)
	s_cmp_lt_i32 s5, s22
	.loc	1 49 49 is_stmt 0               ; persistent_matmul.py:49:49
	s_cselect_b32 s5, s5, 0
	.loc	1 57 49 is_stmt 1               ; persistent_matmul.py:57:49
	s_wait_alu depctr_sa_sdst(0)
	s_mul_i32 s83, s5, s26
	.loc	1 60 24                         ; persistent_matmul.py:60:24
	s_and_saveexec_b32 s5, s11
	s_cbranch_execz .LBB0_35
; %bb.34:
	.loc	1 57 61                         ; persistent_matmul.py:57:61
	v_add_nc_u32_e32 v20, s83, v35
	s_delay_alu instid0(VALU_DEP_1) | instskip(NEXT) | instid1(VALU_DEP_1)
	.loc	1 57 30 is_stmt 0               ; persistent_matmul.py:57:30
	v_ashrrev_i32_e32 v21, 31, v20
	v_lshlrev_b64_e32 v[20:21], 1, v[20:21]
	s_delay_alu instid0(VALU_DEP_1) | instskip(SKIP_1) | instid1(VALU_DEP_2)
	v_add_co_u32 v20, vcc_lo, s28, v20
	s_wait_alu depctr_va_vcc(0)
	v_add_co_ci_u32_e64 v21, null, s29, v21, vcc_lo
	.loc	1 60 24 is_stmt 1               ; persistent_matmul.py:60:24
	global_load_u16 v20, v[20:21], off
.LBB0_35:
	.loc	1 0 24 is_stmt 0                ; persistent_matmul.py:0:24
	s_wait_alu depctr_sa_sdst(0)
	s_or_b32 exec_lo, exec_lo, s5
	.loc	1 47 41 is_stmt 1               ; persistent_matmul.py:47:41
	s_or_b32 s5, s41, 0x44
	s_wait_alu depctr_sa_sdst(0)
	v_writelane_b32 v241, s5, 24
	.loc	1 47 28 is_stmt 0               ; persistent_matmul.py:47:28
	s_or_b32 s5, s7, s5
	.loc	1 49 37 is_stmt 1               ; persistent_matmul.py:49:37
	s_wait_alu depctr_sa_sdst(0)
	s_cmp_lt_i32 s5, s22
	.loc	1 49 49 is_stmt 0               ; persistent_matmul.py:49:49
	s_cselect_b32 s5, s5, 0
	.loc	1 57 49 is_stmt 1               ; persistent_matmul.py:57:49
	s_wait_alu depctr_sa_sdst(0)
	s_mul_i32 s85, s5, s26
	.loc	1 60 24                         ; persistent_matmul.py:60:24
	s_and_saveexec_b32 s5, s11
	s_cbranch_execz .LBB0_37
; %bb.36:
	.loc	1 57 61                         ; persistent_matmul.py:57:61
	v_add_nc_u32_e32 v21, s85, v35
	s_delay_alu instid0(VALU_DEP_1) | instskip(NEXT) | instid1(VALU_DEP_1)
	.loc	1 57 30 is_stmt 0               ; persistent_matmul.py:57:30
	v_ashrrev_i32_e32 v22, 31, v21
	v_lshlrev_b64_e32 v[21:22], 1, v[21:22]
	s_delay_alu instid0(VALU_DEP_1) | instskip(SKIP_1) | instid1(VALU_DEP_2)
	v_add_co_u32 v21, vcc_lo, s28, v21
	s_wait_alu depctr_va_vcc(0)
	v_add_co_ci_u32_e64 v22, null, s29, v22, vcc_lo
	.loc	1 60 24 is_stmt 1               ; persistent_matmul.py:60:24
	global_load_u16 v19, v[21:22], off
.LBB0_37:
	.loc	1 0 24 is_stmt 0                ; persistent_matmul.py:0:24
	s_wait_alu depctr_sa_sdst(0)
	s_or_b32 exec_lo, exec_lo, s5
	.loc	1 47 41 is_stmt 1               ; persistent_matmul.py:47:41
	s_or_b32 s5, s41, 0x48
	v_dual_mov_b32 v21, 0 :: v_dual_mov_b32 v22, 0
	s_wait_alu depctr_sa_sdst(0)
	v_writelane_b32 v241, s5, 25
	.loc	1 47 28 is_stmt 0               ; persistent_matmul.py:47:28
	s_or_b32 s5, s7, s5
	.loc	1 49 37 is_stmt 1               ; persistent_matmul.py:49:37
	s_wait_alu depctr_sa_sdst(0)
	s_cmp_lt_i32 s5, s22
	.loc	1 49 49 is_stmt 0               ; persistent_matmul.py:49:49
	s_cselect_b32 s5, s5, 0
	.loc	1 57 49 is_stmt 1               ; persistent_matmul.py:57:49
	s_wait_alu depctr_sa_sdst(0)
	s_mul_i32 s87, s5, s26
	.loc	1 60 24                         ; persistent_matmul.py:60:24
	s_and_saveexec_b32 s5, s11
	s_cbranch_execz .LBB0_39
; %bb.38:
	.loc	1 57 61                         ; persistent_matmul.py:57:61
	v_add_nc_u32_e32 v22, s87, v35
	s_delay_alu instid0(VALU_DEP_1) | instskip(NEXT) | instid1(VALU_DEP_1)
	.loc	1 57 30 is_stmt 0               ; persistent_matmul.py:57:30
	v_ashrrev_i32_e32 v23, 31, v22
	v_lshlrev_b64_e32 v[22:23], 1, v[22:23]
	s_delay_alu instid0(VALU_DEP_1) | instskip(SKIP_1) | instid1(VALU_DEP_2)
	v_add_co_u32 v22, vcc_lo, s28, v22
	s_wait_alu depctr_va_vcc(0)
	v_add_co_ci_u32_e64 v23, null, s29, v23, vcc_lo
	.loc	1 60 24 is_stmt 1               ; persistent_matmul.py:60:24
	global_load_u16 v22, v[22:23], off
.LBB0_39:
	.loc	1 0 24 is_stmt 0                ; persistent_matmul.py:0:24
	s_wait_alu depctr_sa_sdst(0)
	s_or_b32 exec_lo, exec_lo, s5
	.loc	1 47 41 is_stmt 1               ; persistent_matmul.py:47:41
	s_or_b32 s5, s41, 0x4c
	s_wait_alu depctr_sa_sdst(0)
	v_writelane_b32 v241, s5, 26
	.loc	1 47 28 is_stmt 0               ; persistent_matmul.py:47:28
	s_or_b32 s5, s7, s5
	.loc	1 49 37 is_stmt 1               ; persistent_matmul.py:49:37
	s_wait_alu depctr_sa_sdst(0)
	s_cmp_lt_i32 s5, s22
	.loc	1 49 49 is_stmt 0               ; persistent_matmul.py:49:49
	s_cselect_b32 s5, s5, 0
	.loc	1 57 49 is_stmt 1               ; persistent_matmul.py:57:49
	s_wait_alu depctr_sa_sdst(0)
	s_mul_i32 s89, s5, s26
	.loc	1 60 24                         ; persistent_matmul.py:60:24
	s_and_saveexec_b32 s5, s11
	s_cbranch_execz .LBB0_41
; %bb.40:
	.loc	1 57 61                         ; persistent_matmul.py:57:61
	v_add_nc_u32_e32 v23, s89, v35
	s_delay_alu instid0(VALU_DEP_1) | instskip(NEXT) | instid1(VALU_DEP_1)
	.loc	1 57 30 is_stmt 0               ; persistent_matmul.py:57:30
	v_ashrrev_i32_e32 v24, 31, v23
	v_lshlrev_b64_e32 v[23:24], 1, v[23:24]
	s_delay_alu instid0(VALU_DEP_1) | instskip(SKIP_1) | instid1(VALU_DEP_2)
	v_add_co_u32 v23, vcc_lo, s28, v23
	s_wait_alu depctr_va_vcc(0)
	v_add_co_ci_u32_e64 v24, null, s29, v24, vcc_lo
	.loc	1 60 24 is_stmt 1               ; persistent_matmul.py:60:24
	global_load_u16 v21, v[23:24], off
.LBB0_41:
	.loc	1 0 24 is_stmt 0                ; persistent_matmul.py:0:24
	s_wait_alu depctr_sa_sdst(0)
	s_or_b32 exec_lo, exec_lo, s5
	.loc	1 47 41 is_stmt 1               ; persistent_matmul.py:47:41
	s_or_b32 s5, s41, 0x50
	v_dual_mov_b32 v23, 0 :: v_dual_mov_b32 v24, 0
	s_wait_alu depctr_sa_sdst(0)
	v_writelane_b32 v241, s5, 27
	.loc	1 47 28 is_stmt 0               ; persistent_matmul.py:47:28
	s_or_b32 s5, s7, s5
	.loc	1 49 37 is_stmt 1               ; persistent_matmul.py:49:37
	s_wait_alu depctr_sa_sdst(0)
	s_cmp_lt_i32 s5, s22
	.loc	1 49 49 is_stmt 0               ; persistent_matmul.py:49:49
	s_cselect_b32 s5, s5, 0
	.loc	1 57 49 is_stmt 1               ; persistent_matmul.py:57:49
	s_wait_alu depctr_sa_sdst(0)
	s_mul_i32 s91, s5, s26
	.loc	1 60 24                         ; persistent_matmul.py:60:24
	s_and_saveexec_b32 s5, s11
	s_cbranch_execz .LBB0_43
; %bb.42:
	.loc	1 57 61                         ; persistent_matmul.py:57:61
	v_add_nc_u32_e32 v24, s91, v35
	s_delay_alu instid0(VALU_DEP_1) | instskip(NEXT) | instid1(VALU_DEP_1)
	.loc	1 57 30 is_stmt 0               ; persistent_matmul.py:57:30
	v_ashrrev_i32_e32 v25, 31, v24
	v_lshlrev_b64_e32 v[24:25], 1, v[24:25]
	s_delay_alu instid0(VALU_DEP_1) | instskip(SKIP_1) | instid1(VALU_DEP_2)
	v_add_co_u32 v24, vcc_lo, s28, v24
	s_wait_alu depctr_va_vcc(0)
	v_add_co_ci_u32_e64 v25, null, s29, v25, vcc_lo
	.loc	1 60 24 is_stmt 1               ; persistent_matmul.py:60:24
	global_load_u16 v24, v[24:25], off
.LBB0_43:
	.loc	1 0 24 is_stmt 0                ; persistent_matmul.py:0:24
	s_wait_alu depctr_sa_sdst(0)
	s_or_b32 exec_lo, exec_lo, s5
	.loc	1 47 41 is_stmt 1               ; persistent_matmul.py:47:41
	s_or_b32 s5, s41, 0x54
	s_wait_alu depctr_sa_sdst(0)
	v_writelane_b32 v241, s5, 28
	.loc	1 47 28 is_stmt 0               ; persistent_matmul.py:47:28
	s_or_b32 s5, s7, s5
	.loc	1 49 37 is_stmt 1               ; persistent_matmul.py:49:37
	s_wait_alu depctr_sa_sdst(0)
	s_cmp_lt_i32 s5, s22
	.loc	1 49 49 is_stmt 0               ; persistent_matmul.py:49:49
	s_cselect_b32 s5, s5, 0
	.loc	1 57 49 is_stmt 1               ; persistent_matmul.py:57:49
	s_wait_alu depctr_sa_sdst(0)
	s_mul_i32 s93, s5, s26
	.loc	1 60 24                         ; persistent_matmul.py:60:24
	s_and_saveexec_b32 s5, s11
	s_cbranch_execz .LBB0_45
; %bb.44:
	.loc	1 57 61                         ; persistent_matmul.py:57:61
	v_add_nc_u32_e32 v25, s93, v35
	s_delay_alu instid0(VALU_DEP_1) | instskip(NEXT) | instid1(VALU_DEP_1)
	.loc	1 57 30 is_stmt 0               ; persistent_matmul.py:57:30
	v_ashrrev_i32_e32 v26, 31, v25
	v_lshlrev_b64_e32 v[25:26], 1, v[25:26]
	s_delay_alu instid0(VALU_DEP_1) | instskip(SKIP_1) | instid1(VALU_DEP_2)
	v_add_co_u32 v25, vcc_lo, s28, v25
	s_wait_alu depctr_va_vcc(0)
	v_add_co_ci_u32_e64 v26, null, s29, v26, vcc_lo
	.loc	1 60 24 is_stmt 1               ; persistent_matmul.py:60:24
	global_load_u16 v23, v[25:26], off
.LBB0_45:
	.loc	1 0 24 is_stmt 0                ; persistent_matmul.py:0:24
	s_wait_alu depctr_sa_sdst(0)
	s_or_b32 exec_lo, exec_lo, s5
	.loc	1 47 41 is_stmt 1               ; persistent_matmul.py:47:41
	s_or_b32 s5, s41, 0x58
	v_dual_mov_b32 v25, 0 :: v_dual_mov_b32 v26, 0
	s_wait_alu depctr_sa_sdst(0)
	v_writelane_b32 v241, s5, 29
	.loc	1 47 28 is_stmt 0               ; persistent_matmul.py:47:28
	s_or_b32 s5, s7, s5
	.loc	1 49 37 is_stmt 1               ; persistent_matmul.py:49:37
	s_wait_alu depctr_sa_sdst(0)
	s_cmp_lt_i32 s5, s22
	.loc	1 49 49 is_stmt 0               ; persistent_matmul.py:49:49
	s_cselect_b32 s5, s5, 0
	.loc	1 57 49 is_stmt 1               ; persistent_matmul.py:57:49
	s_wait_alu depctr_sa_sdst(0)
	s_mul_i32 s95, s5, s26
	.loc	1 60 24                         ; persistent_matmul.py:60:24
	s_and_saveexec_b32 s5, s11
	s_cbranch_execz .LBB0_47
; %bb.46:
	.loc	1 57 61                         ; persistent_matmul.py:57:61
	v_add_nc_u32_e32 v26, s95, v35
	s_delay_alu instid0(VALU_DEP_1) | instskip(NEXT) | instid1(VALU_DEP_1)
	.loc	1 57 30 is_stmt 0               ; persistent_matmul.py:57:30
	v_ashrrev_i32_e32 v27, 31, v26
	v_lshlrev_b64_e32 v[26:27], 1, v[26:27]
	s_delay_alu instid0(VALU_DEP_1) | instskip(SKIP_1) | instid1(VALU_DEP_2)
	v_add_co_u32 v26, vcc_lo, s28, v26
	s_wait_alu depctr_va_vcc(0)
	v_add_co_ci_u32_e64 v27, null, s29, v27, vcc_lo
	.loc	1 60 24 is_stmt 1               ; persistent_matmul.py:60:24
	global_load_u16 v26, v[26:27], off
.LBB0_47:
	.loc	1 0 24 is_stmt 0                ; persistent_matmul.py:0:24
	s_wait_alu depctr_sa_sdst(0)
	s_or_b32 exec_lo, exec_lo, s5
	.loc	1 47 41 is_stmt 1               ; persistent_matmul.py:47:41
	s_or_b32 s5, s41, 0x5c
	s_wait_alu depctr_sa_sdst(0)
	v_writelane_b32 v241, s5, 30
	.loc	1 47 28 is_stmt 0               ; persistent_matmul.py:47:28
	s_or_b32 s5, s7, s5
	.loc	1 49 37 is_stmt 1               ; persistent_matmul.py:49:37
	s_wait_alu depctr_sa_sdst(0)
	s_cmp_lt_i32 s5, s22
	.loc	1 49 49 is_stmt 0               ; persistent_matmul.py:49:49
	s_cselect_b32 s5, s5, 0
	.loc	1 57 49 is_stmt 1               ; persistent_matmul.py:57:49
	s_wait_alu depctr_sa_sdst(0)
	s_mul_i32 s98, s5, s26
	.loc	1 60 24                         ; persistent_matmul.py:60:24
	s_and_saveexec_b32 s5, s11
	s_cbranch_execz .LBB0_49
; %bb.48:
	.loc	1 57 61                         ; persistent_matmul.py:57:61
	v_add_nc_u32_e32 v27, s98, v35
	s_delay_alu instid0(VALU_DEP_1) | instskip(NEXT) | instid1(VALU_DEP_1)
	.loc	1 57 30 is_stmt 0               ; persistent_matmul.py:57:30
	v_ashrrev_i32_e32 v28, 31, v27
	v_lshlrev_b64_e32 v[27:28], 1, v[27:28]
	s_delay_alu instid0(VALU_DEP_1) | instskip(SKIP_1) | instid1(VALU_DEP_2)
	v_add_co_u32 v27, vcc_lo, s28, v27
	s_wait_alu depctr_va_vcc(0)
	v_add_co_ci_u32_e64 v28, null, s29, v28, vcc_lo
	.loc	1 60 24 is_stmt 1               ; persistent_matmul.py:60:24
	global_load_u16 v25, v[27:28], off
.LBB0_49:
	.loc	1 0 24 is_stmt 0                ; persistent_matmul.py:0:24
	s_wait_alu depctr_sa_sdst(0)
	s_or_b32 exec_lo, exec_lo, s5
	.loc	1 47 41 is_stmt 1               ; persistent_matmul.py:47:41
	s_or_b32 s5, s41, 0x60
	v_dual_mov_b32 v27, 0 :: v_dual_mov_b32 v28, 0
	s_wait_alu depctr_sa_sdst(0)
	v_writelane_b32 v241, s5, 31
	.loc	1 47 28 is_stmt 0               ; persistent_matmul.py:47:28
	s_or_b32 s5, s7, s5
	.loc	1 49 37 is_stmt 1               ; persistent_matmul.py:49:37
	s_wait_alu depctr_sa_sdst(0)
	s_cmp_lt_i32 s5, s22
	.loc	1 49 49 is_stmt 0               ; persistent_matmul.py:49:49
	s_cselect_b32 s5, s5, 0
	.loc	1 57 49 is_stmt 1               ; persistent_matmul.py:57:49
	s_wait_alu depctr_sa_sdst(0)
	s_mul_i32 s99, s5, s26
	.loc	1 60 24                         ; persistent_matmul.py:60:24
	s_and_saveexec_b32 s5, s11
	s_cbranch_execz .LBB0_51
; %bb.50:
	.loc	1 57 61                         ; persistent_matmul.py:57:61
	s_wait_alu depctr_sa_sdst(0)
	v_add_nc_u32_e32 v28, s99, v35
	s_delay_alu instid0(VALU_DEP_1) | instskip(NEXT) | instid1(VALU_DEP_1)
	.loc	1 57 30 is_stmt 0               ; persistent_matmul.py:57:30
	v_ashrrev_i32_e32 v29, 31, v28
	v_lshlrev_b64_e32 v[28:29], 1, v[28:29]
	s_delay_alu instid0(VALU_DEP_1) | instskip(SKIP_1) | instid1(VALU_DEP_2)
	v_add_co_u32 v28, vcc_lo, s28, v28
	s_wait_alu depctr_va_vcc(0)
	v_add_co_ci_u32_e64 v29, null, s29, v29, vcc_lo
	.loc	1 60 24 is_stmt 1               ; persistent_matmul.py:60:24
	global_load_u16 v28, v[28:29], off
.LBB0_51:
	.loc	1 0 24 is_stmt 0                ; persistent_matmul.py:0:24
	s_wait_alu depctr_sa_sdst(0)
	s_or_b32 exec_lo, exec_lo, s5
	.loc	1 47 41 is_stmt 1               ; persistent_matmul.py:47:41
	s_or_b32 s5, s41, 0x64
                                        ; implicit-def: $vgpr240 : SGPR spill to VGPR lane
	s_wait_alu depctr_sa_sdst(0)
	v_writelane_b32 v240, s5, 0
	.loc	1 47 28 is_stmt 0               ; persistent_matmul.py:47:28
	s_or_b32 s5, s7, s5
	.loc	1 49 37 is_stmt 1               ; persistent_matmul.py:49:37
	s_wait_alu depctr_sa_sdst(0)
	s_cmp_lt_i32 s5, s22
	.loc	1 49 49 is_stmt 0               ; persistent_matmul.py:49:49
	s_cselect_b32 s5, s5, 0
	.loc	1 57 49 is_stmt 1               ; persistent_matmul.py:57:49
	s_wait_alu depctr_sa_sdst(0)
	s_mul_i32 s102, s5, s26
	.loc	1 60 24                         ; persistent_matmul.py:60:24
	s_and_saveexec_b32 s5, s11
	s_cbranch_execz .LBB0_53
; %bb.52:
	.loc	1 57 61                         ; persistent_matmul.py:57:61
	v_add_nc_u32_e32 v29, s102, v35
	s_delay_alu instid0(VALU_DEP_1) | instskip(NEXT) | instid1(VALU_DEP_1)
	.loc	1 57 30 is_stmt 0               ; persistent_matmul.py:57:30
	v_ashrrev_i32_e32 v30, 31, v29
	v_lshlrev_b64_e32 v[29:30], 1, v[29:30]
	s_delay_alu instid0(VALU_DEP_1) | instskip(SKIP_1) | instid1(VALU_DEP_2)
	v_add_co_u32 v29, vcc_lo, s28, v29
	s_wait_alu depctr_va_vcc(0)
	v_add_co_ci_u32_e64 v30, null, s29, v30, vcc_lo
	.loc	1 60 24 is_stmt 1               ; persistent_matmul.py:60:24
	global_load_u16 v27, v[29:30], off
.LBB0_53:
	.loc	1 0 24 is_stmt 0                ; persistent_matmul.py:0:24
	s_wait_alu depctr_sa_sdst(0)
	s_or_b32 exec_lo, exec_lo, s5
	.loc	1 47 41 is_stmt 1               ; persistent_matmul.py:47:41
	s_or_b32 s5, s41, 0x68
	v_dual_mov_b32 v29, 0 :: v_dual_mov_b32 v30, 0
	s_wait_alu depctr_sa_sdst(0)
	v_writelane_b32 v240, s5, 1
	.loc	1 47 28 is_stmt 0               ; persistent_matmul.py:47:28
	s_or_b32 s5, s7, s5
	.loc	1 49 37 is_stmt 1               ; persistent_matmul.py:49:37
	s_wait_alu depctr_sa_sdst(0)
	s_cmp_lt_i32 s5, s22
	.loc	1 49 49 is_stmt 0               ; persistent_matmul.py:49:49
	s_cselect_b32 s5, s5, 0
	.loc	1 57 49 is_stmt 1               ; persistent_matmul.py:57:49
	s_wait_alu depctr_sa_sdst(0)
	s_mul_i32 s104, s5, s26
	.loc	1 60 24                         ; persistent_matmul.py:60:24
	s_and_saveexec_b32 s5, s11
	s_cbranch_execz .LBB0_55
; %bb.54:
	.loc	1 57 61                         ; persistent_matmul.py:57:61
	v_add_nc_u32_e32 v30, s104, v35
	s_delay_alu instid0(VALU_DEP_1) | instskip(NEXT) | instid1(VALU_DEP_1)
	.loc	1 57 30 is_stmt 0               ; persistent_matmul.py:57:30
	v_ashrrev_i32_e32 v31, 31, v30
	v_lshlrev_b64_e32 v[30:31], 1, v[30:31]
	s_delay_alu instid0(VALU_DEP_1) | instskip(SKIP_1) | instid1(VALU_DEP_2)
	v_add_co_u32 v30, vcc_lo, s28, v30
	s_wait_alu depctr_va_vcc(0)
	v_add_co_ci_u32_e64 v31, null, s29, v31, vcc_lo
	.loc	1 60 24 is_stmt 1               ; persistent_matmul.py:60:24
	global_load_u16 v30, v[30:31], off
.LBB0_55:
	.loc	1 0 24 is_stmt 0                ; persistent_matmul.py:0:24
	s_wait_alu depctr_sa_sdst(0)
	s_or_b32 exec_lo, exec_lo, s5
	.loc	1 47 41 is_stmt 1               ; persistent_matmul.py:47:41
	s_or_b32 s5, s41, 0x6c
	s_mul_i32 s4, s4, s35
	s_wait_alu depctr_sa_sdst(0)
	v_writelane_b32 v240, s5, 2
	.loc	1 47 28 is_stmt 0               ; persistent_matmul.py:47:28
	s_or_b32 s5, s7, s5
	.loc	1 49 37 is_stmt 1               ; persistent_matmul.py:49:37
	s_wait_alu depctr_sa_sdst(0)
	s_cmp_lt_i32 s5, s22
	.loc	1 49 49 is_stmt 0               ; persistent_matmul.py:49:49
	s_cselect_b32 s5, s5, 0
	.loc	1 57 49 is_stmt 1               ; persistent_matmul.py:57:49
	s_wait_alu depctr_sa_sdst(0)
	s_mul_i32 s39, s5, s26
	.loc	1 60 24                         ; persistent_matmul.py:60:24
	s_and_saveexec_b32 s5, s11
	s_cbranch_execz .LBB0_57
; %bb.56:
	.loc	1 57 61                         ; persistent_matmul.py:57:61
	v_add_nc_u32_e32 v31, s39, v35
	s_delay_alu instid0(VALU_DEP_1) | instskip(NEXT) | instid1(VALU_DEP_1)
	.loc	1 57 30 is_stmt 0               ; persistent_matmul.py:57:30
	v_ashrrev_i32_e32 v32, 31, v31
	v_lshlrev_b64_e32 v[31:32], 1, v[31:32]
	s_delay_alu instid0(VALU_DEP_1) | instskip(SKIP_1) | instid1(VALU_DEP_2)
	v_add_co_u32 v31, vcc_lo, s28, v31
	s_wait_alu depctr_va_vcc(0)
	v_add_co_ci_u32_e64 v32, null, s29, v32, vcc_lo
	.loc	1 60 24 is_stmt 1               ; persistent_matmul.py:60:24
	global_load_u16 v29, v[31:32], off
.LBB0_57:
	.loc	1 0 24 is_stmt 0                ; persistent_matmul.py:0:24
	s_wait_alu depctr_sa_sdst(0)
	s_or_b32 exec_lo, exec_lo, s5
	.loc	1 47 41 is_stmt 1               ; persistent_matmul.py:47:41
	s_or_b32 s5, s41, 0x70
	s_sub_co_i32 s12, ttmp9, s4
	s_wait_alu depctr_sa_sdst(0)
	v_writelane_b32 v240, s5, 3
	.loc	1 47 28 is_stmt 0               ; persistent_matmul.py:47:28
	s_or_b32 s5, s7, s5
	v_dual_mov_b32 v31, 0 :: v_dual_mov_b32 v32, 0
	.loc	1 49 37 is_stmt 1               ; persistent_matmul.py:49:37
	s_wait_alu depctr_sa_sdst(0)
	s_cmp_lt_i32 s5, s22
	.loc	1 49 49 is_stmt 0               ; persistent_matmul.py:49:49
	s_cselect_b32 s4, s5, 0
	.loc	1 57 49 is_stmt 1               ; persistent_matmul.py:57:49
	s_wait_alu depctr_sa_sdst(0)
	s_mul_i32 s45, s4, s26
	.loc	1 60 24                         ; persistent_matmul.py:60:24
	s_and_saveexec_b32 s4, s11
	s_cbranch_execz .LBB0_59
; %bb.58:
	.loc	1 57 61                         ; persistent_matmul.py:57:61
	v_add_nc_u32_e32 v32, s45, v35
	s_delay_alu instid0(VALU_DEP_1) | instskip(NEXT) | instid1(VALU_DEP_1)
	.loc	1 57 30 is_stmt 0               ; persistent_matmul.py:57:30
	v_ashrrev_i32_e32 v33, 31, v32
	v_lshlrev_b64_e32 v[32:33], 1, v[32:33]
	s_delay_alu instid0(VALU_DEP_1) | instskip(SKIP_1) | instid1(VALU_DEP_2)
	v_add_co_u32 v32, vcc_lo, s28, v32
	s_wait_alu depctr_va_vcc(0)
	v_add_co_ci_u32_e64 v33, null, s29, v33, vcc_lo
	.loc	1 60 24 is_stmt 1               ; persistent_matmul.py:60:24
	global_load_u16 v32, v[32:33], off
.LBB0_59:
	.loc	1 0 24 is_stmt 0                ; persistent_matmul.py:0:24
	s_wait_alu depctr_sa_sdst(0)
	s_or_b32 exec_lo, exec_lo, s4
	.loc	1 47 41 is_stmt 1               ; persistent_matmul.py:47:41
	s_or_b32 s4, s41, 0x74
	.loc	1 47 28 is_stmt 0               ; persistent_matmul.py:47:28
	s_wait_alu depctr_sa_sdst(0)
	s_or_b32 s5, s7, s4
	v_writelane_b32 v240, s4, 4
	s_abs_i32 s4, s12
	.loc	1 49 37 is_stmt 1               ; persistent_matmul.py:49:37
	s_wait_alu depctr_sa_sdst(0)
	s_cmp_lt_i32 s5, s22
	.loc	1 49 49 is_stmt 0               ; persistent_matmul.py:49:49
	s_cselect_b32 s5, s5, 0
	.loc	1 57 49 is_stmt 1               ; persistent_matmul.py:57:49
	s_wait_alu depctr_sa_sdst(0)
	s_mul_i32 s47, s5, s26
	.loc	1 60 24                         ; persistent_matmul.py:60:24
	s_and_saveexec_b32 s5, s11
	s_cbranch_execz .LBB0_61
; %bb.60:
	.loc	1 57 61                         ; persistent_matmul.py:57:61
	v_add_nc_u32_e32 v33, s47, v35
	s_delay_alu instid0(VALU_DEP_1) | instskip(NEXT) | instid1(VALU_DEP_1)
	.loc	1 57 30 is_stmt 0               ; persistent_matmul.py:57:30
	v_ashrrev_i32_e32 v34, 31, v33
	v_lshlrev_b64_e32 v[33:34], 1, v[33:34]
	s_delay_alu instid0(VALU_DEP_1) | instskip(SKIP_1) | instid1(VALU_DEP_2)
	v_add_co_u32 v33, vcc_lo, s28, v33
	s_wait_alu depctr_va_vcc(0)
	v_add_co_ci_u32_e64 v34, null, s29, v34, vcc_lo
	.loc	1 60 24 is_stmt 1               ; persistent_matmul.py:60:24
	global_load_u16 v31, v[33:34], off
.LBB0_61:
	.loc	1 0 24 is_stmt 0                ; persistent_matmul.py:0:24
	s_wait_alu depctr_sa_sdst(0)
	s_or_b32 exec_lo, exec_lo, s5
	.loc	1 47 41 is_stmt 1               ; persistent_matmul.py:47:41
	s_or_b32 s5, s41, 0x78
	v_dual_mov_b32 v33, 0 :: v_dual_mov_b32 v34, 0
	s_wait_alu depctr_sa_sdst(0)
	v_writelane_b32 v240, s5, 5
	.loc	1 47 28 is_stmt 0               ; persistent_matmul.py:47:28
	s_or_b32 s5, s7, s5
	.loc	1 49 37 is_stmt 1               ; persistent_matmul.py:49:37
	s_wait_alu depctr_sa_sdst(0)
	s_cmp_lt_i32 s5, s22
	.loc	1 49 49 is_stmt 0               ; persistent_matmul.py:49:49
	s_cselect_b32 s13, s5, 0
	s_mov_b32 s5, s3
	.loc	1 57 49 is_stmt 1               ; persistent_matmul.py:57:49
	s_wait_alu depctr_sa_sdst(0)
	s_mul_i32 s50, s13, s26
	.loc	1 60 24                         ; persistent_matmul.py:60:24
	s_and_saveexec_b32 s13, s11
	s_cbranch_execz .LBB0_63
; %bb.62:
	.loc	1 57 61                         ; persistent_matmul.py:57:61
	v_add_nc_u32_e32 v36, s50, v35
	s_delay_alu instid0(VALU_DEP_1) | instskip(NEXT) | instid1(VALU_DEP_1)
	.loc	1 57 30 is_stmt 0               ; persistent_matmul.py:57:30
	v_ashrrev_i32_e32 v37, 31, v36
	v_lshlrev_b64_e32 v[36:37], 1, v[36:37]
	s_delay_alu instid0(VALU_DEP_1) | instskip(SKIP_1) | instid1(VALU_DEP_2)
	v_add_co_u32 v36, vcc_lo, s28, v36
	s_wait_alu depctr_va_vcc(0)
	v_add_co_ci_u32_e64 v37, null, s29, v37, vcc_lo
	.loc	1 60 24 is_stmt 1               ; persistent_matmul.py:60:24
	global_load_u16 v34, v[36:37], off
.LBB0_63:
	.loc	1 0 24 is_stmt 0                ; persistent_matmul.py:0:24
	s_wait_alu depctr_sa_sdst(0)
	s_or_b32 exec_lo, exec_lo, s13
	s_clause 0x1
	s_load_b64 s[30:31], s[0:1], 0x8
	s_load_b32 s13, s[0:1], 0x30
	.loc	1 47 41 is_stmt 1               ; persistent_matmul.py:47:41
	s_or_b32 s14, s41, 0x7c
	s_ashr_i32 s12, s12, 31
	s_wait_kmcnt 0x0
	v_writelane_b32 v240, s13, 6
	s_ashr_i32 s13, s6, 31
	s_wait_alu depctr_sa_sdst(0)
	v_writelane_b32 v240, s14, 7
	.loc	1 47 28 is_stmt 0               ; persistent_matmul.py:47:28
	s_or_b32 s14, s7, s14
	s_mul_u64 s[6:7], s[4:5], s[2:3]
	.loc	1 49 37 is_stmt 1               ; persistent_matmul.py:49:37
	s_wait_alu depctr_sa_sdst(0)
	s_cmp_lt_i32 s14, s22
	.loc	1 49 49 is_stmt 0               ; persistent_matmul.py:49:49
	s_cselect_b32 s2, s14, 0
	.loc	1 57 49 is_stmt 1               ; persistent_matmul.py:57:49
	s_wait_alu depctr_sa_sdst(0)
	s_mul_i32 s55, s2, s26
	.loc	1 60 24                         ; persistent_matmul.py:60:24
	s_and_saveexec_b32 s2, s11
	s_cbranch_execz .LBB0_65
; %bb.64:
	.loc	1 57 61                         ; persistent_matmul.py:57:61
	v_add_nc_u32_e32 v35, s55, v35
	s_delay_alu instid0(VALU_DEP_1) | instskip(NEXT) | instid1(VALU_DEP_1)
	.loc	1 57 30 is_stmt 0               ; persistent_matmul.py:57:30
	v_ashrrev_i32_e32 v36, 31, v35
	v_lshlrev_b64_e32 v[35:36], 1, v[35:36]
	s_delay_alu instid0(VALU_DEP_1) | instskip(SKIP_1) | instid1(VALU_DEP_2)
	v_add_co_u32 v35, vcc_lo, s28, v35
	s_wait_alu depctr_va_vcc(0)
	v_add_co_ci_u32_e64 v36, null, s29, v36, vcc_lo
	.loc	1 60 24 is_stmt 1               ; persistent_matmul.py:60:24
	global_load_u16 v33, v[35:36], off
.LBB0_65:
	.loc	1 0 24 is_stmt 0                ; persistent_matmul.py:0:24
	s_wait_alu depctr_sa_sdst(0)
	s_or_b32 exec_lo, exec_lo, s2
.Ltmp27:
	.loc	1 14 44 is_stmt 1               ; persistent_matmul.py:14:44 @[ persistent_matmul.py:44:88 ]
	s_mul_i32 s2, s7, s10
	s_xor_b32 s5, s12, s13
	s_wait_alu depctr_sa_sdst(0)
	s_sub_co_i32 s2, s4, s2
	s_add_co_i32 s4, s7, 1
	s_wait_alu depctr_sa_sdst(0)
	s_sub_co_i32 s6, s2, s10
	s_cmp_ge_u32 s2, s10
.Ltmp28:
	.loc	1 47 41                         ; persistent_matmul.py:47:41
	v_and_b32_e32 v150, 0x7f, v1
.Ltmp29:
	.loc	1 14 44                         ; persistent_matmul.py:14:44 @[ persistent_matmul.py:44:88 ]
	s_cselect_b32 s4, s4, s7
	s_wait_alu depctr_sa_sdst(0)
	s_cselect_b32 s2, s6, s2
	s_add_co_i32 s6, s4, 1
	s_wait_alu depctr_sa_sdst(0)
	s_cmp_ge_u32 s2, s10
	s_load_b32 s100, s[0:1], 0x2c
	s_cselect_b32 s2, s6, s4
.Ltmp30:
	.loc	1 58 79                         ; persistent_matmul.py:58:79
	v_readlane_b32 s1, v240, 6
.Ltmp31:
	.loc	1 14 44                         ; persistent_matmul.py:14:44 @[ persistent_matmul.py:44:88 ]
	s_wait_alu depctr_sa_sdst(0)
	s_xor_b32 s2, s2, s5
.Ltmp32:
	.loc	1 40 35                         ; persistent_matmul.py:40:35
	s_lshr_b32 s101, s9, 2
.Ltmp33:
	.loc	1 14 44                         ; persistent_matmul.py:14:44 @[ persistent_matmul.py:44:88 ]
	s_wait_alu depctr_sa_sdst(0)
	s_sub_co_i32 s2, s2, s5
.Ltmp34:
	.loc	1 61 64                         ; persistent_matmul.py:61:64
	s_cmp_ge_i32 s101, s40
	.loc	1 48 28                         ; persistent_matmul.py:48:28
	s_wait_alu depctr_sa_sdst(0)
	v_lshl_or_b32 v35, s2, 7, v150
	.loc	1 61 64                         ; persistent_matmul.py:61:64
	s_cselect_b32 s0, -1, 0
	.loc	1 43 59                         ; persistent_matmul.py:43:59
	s_xor_b32 s44, s16, -1
	v_mov_b32_e32 v36, 0
	.loc	1 61 24                         ; persistent_matmul.py:61:24
	s_wait_alu depctr_sa_sdst(0)
	s_or_b32 s0, s0, s44
	.loc	1 50 37                         ; persistent_matmul.py:50:37
	v_cmp_gt_i32_e32 vcc_lo, s23, v35
	.loc	1 50 49 is_stmt 0               ; persistent_matmul.py:50:49
	s_wait_alu depctr_va_vcc(0)
	v_cndmask_b32_e32 v35, 0, v35, vcc_lo
	.loc	1 61 24 is_stmt 1               ; persistent_matmul.py:61:24
	s_and_b32 vcc_lo, exec_lo, s0
	s_delay_alu instid0(VALU_DEP_1)
	.loc	1 58 79                         ; persistent_matmul.py:58:79
	v_mul_lo_u32 v128, v35, s1
	v_mov_b32_e32 v35, 0
	s_wait_alu depctr_sa_sdst(0)
	s_cbranch_vccnz .LBB0_67
; %bb.66:
	.loc	1 0 79 is_stmt 0                ; persistent_matmul.py:0:79
	s_wait_kmcnt 0x0
	s_delay_alu instid0(VALU_DEP_2) | instskip(NEXT) | instid1(VALU_DEP_1)
	v_mad_co_u64_u32 v[36:37], null, s100, s101, v[128:129]
	v_ashrrev_i32_e32 v37, 31, v36
	s_delay_alu instid0(VALU_DEP_1) | instskip(NEXT) | instid1(VALU_DEP_1)
	v_lshlrev_b64_e32 v[36:37], 1, v[36:37]
	v_add_co_u32 v36, vcc_lo, s30, v36
	s_wait_alu depctr_va_vcc(0)
	s_delay_alu instid0(VALU_DEP_2)
	v_add_co_ci_u32_e64 v37, null, s31, v37, vcc_lo
	.loc	1 61 24 is_stmt 1               ; persistent_matmul.py:61:24
	global_load_u16 v36, v[36:37], off
.LBB0_67:
	.loc	1 40 35                         ; persistent_matmul.py:40:35
	s_or_b32 s103, s101, 2
	.loc	1 61 64                         ; persistent_matmul.py:61:64
	s_wait_alu depctr_sa_sdst(0)
	s_cmp_ge_i32 s103, s40
	s_cselect_b32 s0, -1, 0
	.loc	1 61 24 is_stmt 0               ; persistent_matmul.py:61:24
	s_wait_alu depctr_sa_sdst(0)
	s_or_b32 s0, s0, s44
	s_wait_alu depctr_sa_sdst(0)
	s_and_b32 vcc_lo, exec_lo, s0
	s_wait_alu depctr_sa_sdst(0)
	s_cbranch_vccnz .LBB0_69
; %bb.68:
	.loc	1 58 60 is_stmt 1               ; persistent_matmul.py:58:60
	s_wait_kmcnt 0x0
	v_mad_co_u64_u32 v[37:38], null, s100, s103, v[128:129]
	s_delay_alu instid0(VALU_DEP_1) | instskip(NEXT) | instid1(VALU_DEP_1)
	.loc	1 58 30 is_stmt 0               ; persistent_matmul.py:58:30
	v_ashrrev_i32_e32 v38, 31, v37
	v_lshlrev_b64_e32 v[37:38], 1, v[37:38]
	s_delay_alu instid0(VALU_DEP_1) | instskip(SKIP_1) | instid1(VALU_DEP_2)
	v_add_co_u32 v37, vcc_lo, s30, v37
	s_wait_alu depctr_va_vcc(0)
	v_add_co_ci_u32_e64 v38, null, s31, v38, vcc_lo
	.loc	1 61 24 is_stmt 1               ; persistent_matmul.py:61:24
	global_load_u16 v35, v[37:38], off
.LBB0_69:
	.loc	1 40 35                         ; persistent_matmul.py:40:35
	s_or_b32 vcc_hi, s101, 4
	v_dual_mov_b32 v37, 0 :: v_dual_mov_b32 v38, 0
	.loc	1 61 64                         ; persistent_matmul.py:61:64
	s_wait_alu depctr_sa_sdst(0)
	s_cmp_ge_i32 vcc_hi, s40
	s_cselect_b32 s0, -1, 0
	.loc	1 61 24 is_stmt 0               ; persistent_matmul.py:61:24
	s_wait_alu depctr_sa_sdst(0)
	s_or_b32 s0, s0, s44
	s_wait_alu depctr_sa_sdst(0)
	s_and_b32 vcc_lo, exec_lo, s0
	s_wait_alu depctr_sa_sdst(0)
	s_cbranch_vccnz .LBB0_71
; %bb.70:
	.loc	1 58 60 is_stmt 1               ; persistent_matmul.py:58:60
	s_wait_kmcnt 0x0
	v_mad_co_u64_u32 v[38:39], null, s100, vcc_hi, v[128:129]
	s_delay_alu instid0(VALU_DEP_1) | instskip(NEXT) | instid1(VALU_DEP_1)
	.loc	1 58 30 is_stmt 0               ; persistent_matmul.py:58:30
	v_ashrrev_i32_e32 v39, 31, v38
	v_lshlrev_b64_e32 v[38:39], 1, v[38:39]
	s_delay_alu instid0(VALU_DEP_1) | instskip(SKIP_1) | instid1(VALU_DEP_2)
	v_add_co_u32 v38, vcc_lo, s30, v38
	s_wait_alu depctr_va_vcc(0)
	v_add_co_ci_u32_e64 v39, null, s31, v39, vcc_lo
	.loc	1 61 24 is_stmt 1               ; persistent_matmul.py:61:24
	global_load_u16 v38, v[38:39], off
.LBB0_71:
	.loc	1 40 35                         ; persistent_matmul.py:40:35
	s_or_b32 s38, s101, 6
	.loc	1 61 64                         ; persistent_matmul.py:61:64
	s_wait_alu depctr_sa_sdst(0)
	s_cmp_ge_i32 s38, s40
	s_cselect_b32 s0, -1, 0
	.loc	1 61 24 is_stmt 0               ; persistent_matmul.py:61:24
	s_wait_alu depctr_sa_sdst(0)
	s_or_b32 s0, s0, s44
	s_wait_alu depctr_sa_sdst(0)
	s_and_b32 vcc_lo, exec_lo, s0
	s_wait_alu depctr_sa_sdst(0)
	s_cbranch_vccnz .LBB0_73
; %bb.72:
	.loc	1 58 60 is_stmt 1               ; persistent_matmul.py:58:60
	s_wait_kmcnt 0x0
	v_mad_co_u64_u32 v[39:40], null, s100, s38, v[128:129]
	s_delay_alu instid0(VALU_DEP_1) | instskip(NEXT) | instid1(VALU_DEP_1)
	.loc	1 58 30 is_stmt 0               ; persistent_matmul.py:58:30
	v_ashrrev_i32_e32 v40, 31, v39
	v_lshlrev_b64_e32 v[39:40], 1, v[39:40]
	s_delay_alu instid0(VALU_DEP_1) | instskip(SKIP_1) | instid1(VALU_DEP_2)
	v_add_co_u32 v39, vcc_lo, s30, v39
	s_wait_alu depctr_va_vcc(0)
	v_add_co_ci_u32_e64 v40, null, s31, v40, vcc_lo
	.loc	1 61 24 is_stmt 1               ; persistent_matmul.py:61:24
	global_load_u16 v37, v[39:40], off
.LBB0_73:
	.loc	1 40 35                         ; persistent_matmul.py:40:35
	s_or_b32 s43, s101, 8
	v_dual_mov_b32 v39, 0 :: v_dual_mov_b32 v40, 0
	.loc	1 61 64                         ; persistent_matmul.py:61:64
	s_cmp_ge_i32 s43, s40
	s_cselect_b32 s0, -1, 0
	.loc	1 61 24 is_stmt 0               ; persistent_matmul.py:61:24
	s_wait_alu depctr_sa_sdst(0)
	s_or_b32 s0, s0, s44
	s_wait_alu depctr_sa_sdst(0)
	s_and_b32 vcc_lo, exec_lo, s0
	s_wait_alu depctr_sa_sdst(0)
	s_cbranch_vccnz .LBB0_75
; %bb.74:
	.loc	1 58 60 is_stmt 1               ; persistent_matmul.py:58:60
	s_wait_kmcnt 0x0
	v_mad_co_u64_u32 v[40:41], null, s100, s43, v[128:129]
	s_delay_alu instid0(VALU_DEP_1) | instskip(NEXT) | instid1(VALU_DEP_1)
	.loc	1 58 30 is_stmt 0               ; persistent_matmul.py:58:30
	v_ashrrev_i32_e32 v41, 31, v40
	v_lshlrev_b64_e32 v[40:41], 1, v[40:41]
	s_delay_alu instid0(VALU_DEP_1) | instskip(SKIP_1) | instid1(VALU_DEP_2)
	v_add_co_u32 v40, vcc_lo, s30, v40
	s_wait_alu depctr_va_vcc(0)
	v_add_co_ci_u32_e64 v41, null, s31, v41, vcc_lo
	.loc	1 61 24 is_stmt 1               ; persistent_matmul.py:61:24
	global_load_u16 v40, v[40:41], off
.LBB0_75:
	.loc	1 40 35                         ; persistent_matmul.py:40:35
	s_or_b32 s46, s101, 10
	.loc	1 61 64                         ; persistent_matmul.py:61:64
	s_wait_alu depctr_sa_sdst(0)
	s_cmp_ge_i32 s46, s40
	s_cselect_b32 s0, -1, 0
	.loc	1 61 24 is_stmt 0               ; persistent_matmul.py:61:24
	s_wait_alu depctr_sa_sdst(0)
	s_or_b32 s0, s0, s44
	s_wait_alu depctr_sa_sdst(0)
	s_and_b32 vcc_lo, exec_lo, s0
	s_wait_alu depctr_sa_sdst(0)
	s_cbranch_vccnz .LBB0_77
; %bb.76:
	.loc	1 58 60 is_stmt 1               ; persistent_matmul.py:58:60
	s_wait_kmcnt 0x0
	v_mad_co_u64_u32 v[41:42], null, s100, s46, v[128:129]
	s_delay_alu instid0(VALU_DEP_1) | instskip(NEXT) | instid1(VALU_DEP_1)
	.loc	1 58 30 is_stmt 0               ; persistent_matmul.py:58:30
	v_ashrrev_i32_e32 v42, 31, v41
	v_lshlrev_b64_e32 v[41:42], 1, v[41:42]
	s_delay_alu instid0(VALU_DEP_1) | instskip(SKIP_1) | instid1(VALU_DEP_2)
	v_add_co_u32 v41, vcc_lo, s30, v41
	s_wait_alu depctr_va_vcc(0)
	v_add_co_ci_u32_e64 v42, null, s31, v42, vcc_lo
	.loc	1 61 24 is_stmt 1               ; persistent_matmul.py:61:24
	global_load_u16 v39, v[41:42], off
.LBB0_77:
	.loc	1 40 35                         ; persistent_matmul.py:40:35
	s_or_b32 s48, s101, 12
	v_dual_mov_b32 v41, 0 :: v_dual_mov_b32 v42, 0
	.loc	1 61 64                         ; persistent_matmul.py:61:64
	s_cmp_ge_i32 s48, s40
	s_cselect_b32 s0, -1, 0
	.loc	1 61 24 is_stmt 0               ; persistent_matmul.py:61:24
	s_wait_alu depctr_sa_sdst(0)
	s_or_b32 s0, s0, s44
	s_wait_alu depctr_sa_sdst(0)
	s_and_b32 vcc_lo, exec_lo, s0
	s_wait_alu depctr_sa_sdst(0)
	s_cbranch_vccnz .LBB0_79
; %bb.78:
	.loc	1 58 60 is_stmt 1               ; persistent_matmul.py:58:60
	s_wait_kmcnt 0x0
	v_mad_co_u64_u32 v[42:43], null, s100, s48, v[128:129]
	s_delay_alu instid0(VALU_DEP_1) | instskip(NEXT) | instid1(VALU_DEP_1)
	.loc	1 58 30 is_stmt 0               ; persistent_matmul.py:58:30
	v_ashrrev_i32_e32 v43, 31, v42
	v_lshlrev_b64_e32 v[42:43], 1, v[42:43]
	s_delay_alu instid0(VALU_DEP_1) | instskip(SKIP_1) | instid1(VALU_DEP_2)
	v_add_co_u32 v42, vcc_lo, s30, v42
	s_wait_alu depctr_va_vcc(0)
	v_add_co_ci_u32_e64 v43, null, s31, v43, vcc_lo
	.loc	1 61 24 is_stmt 1               ; persistent_matmul.py:61:24
	global_load_u16 v42, v[42:43], off
.LBB0_79:
	;; [unrolled: 56-line block ×3, first 2 shown]
	.loc	1 40 35                         ; persistent_matmul.py:40:35
	s_or_b32 s57, s101, 18
	s_delay_alu instid0(SALU_CYCLE_1)
	.loc	1 61 64                         ; persistent_matmul.py:61:64
	s_cmp_ge_i32 s57, s40
	s_cselect_b32 s0, -1, 0
	.loc	1 61 24 is_stmt 0               ; persistent_matmul.py:61:24
	s_wait_alu depctr_sa_sdst(0)
	s_or_b32 s0, s0, s44
	s_wait_alu depctr_sa_sdst(0)
	s_and_b32 vcc_lo, exec_lo, s0
	s_wait_alu depctr_sa_sdst(0)
	s_cbranch_vccnz .LBB0_85
; %bb.84:
	.loc	1 58 60 is_stmt 1               ; persistent_matmul.py:58:60
	s_wait_kmcnt 0x0
	v_mad_co_u64_u32 v[45:46], null, s100, s57, v[128:129]
	s_delay_alu instid0(VALU_DEP_1) | instskip(NEXT) | instid1(VALU_DEP_1)
	.loc	1 58 30 is_stmt 0               ; persistent_matmul.py:58:30
	v_ashrrev_i32_e32 v46, 31, v45
	v_lshlrev_b64_e32 v[45:46], 1, v[45:46]
	s_delay_alu instid0(VALU_DEP_1) | instskip(SKIP_1) | instid1(VALU_DEP_2)
	v_add_co_u32 v45, vcc_lo, s30, v45
	s_wait_alu depctr_va_vcc(0)
	v_add_co_ci_u32_e64 v46, null, s31, v46, vcc_lo
	.loc	1 61 24 is_stmt 1               ; persistent_matmul.py:61:24
	global_load_u16 v43, v[45:46], off
.LBB0_85:
	.loc	1 40 35                         ; persistent_matmul.py:40:35
	s_or_b32 s59, s101, 20
	v_dual_mov_b32 v45, 0 :: v_dual_mov_b32 v46, 0
	.loc	1 61 64                         ; persistent_matmul.py:61:64
	s_cmp_ge_i32 s59, s40
	s_cselect_b32 s0, -1, 0
	.loc	1 61 24 is_stmt 0               ; persistent_matmul.py:61:24
	s_wait_alu depctr_sa_sdst(0)
	s_or_b32 s0, s0, s44
	s_wait_alu depctr_sa_sdst(0)
	s_and_b32 vcc_lo, exec_lo, s0
	s_wait_alu depctr_sa_sdst(0)
	s_cbranch_vccnz .LBB0_87
; %bb.86:
	.loc	1 58 60 is_stmt 1               ; persistent_matmul.py:58:60
	s_wait_kmcnt 0x0
	v_mad_co_u64_u32 v[46:47], null, s100, s59, v[128:129]
	s_delay_alu instid0(VALU_DEP_1) | instskip(NEXT) | instid1(VALU_DEP_1)
	.loc	1 58 30 is_stmt 0               ; persistent_matmul.py:58:30
	v_ashrrev_i32_e32 v47, 31, v46
	v_lshlrev_b64_e32 v[46:47], 1, v[46:47]
	s_delay_alu instid0(VALU_DEP_1) | instskip(SKIP_1) | instid1(VALU_DEP_2)
	v_add_co_u32 v46, vcc_lo, s30, v46
	s_wait_alu depctr_va_vcc(0)
	v_add_co_ci_u32_e64 v47, null, s31, v47, vcc_lo
	.loc	1 61 24 is_stmt 1               ; persistent_matmul.py:61:24
	global_load_u16 v46, v[46:47], off
.LBB0_87:
	.loc	1 40 35                         ; persistent_matmul.py:40:35
	s_or_b32 s62, s101, 22
	.loc	1 61 64                         ; persistent_matmul.py:61:64
	s_wait_alu depctr_sa_sdst(0)
	s_cmp_ge_i32 s62, s40
	s_cselect_b32 s0, -1, 0
	.loc	1 61 24 is_stmt 0               ; persistent_matmul.py:61:24
	s_wait_alu depctr_sa_sdst(0)
	s_or_b32 s0, s0, s44
	s_wait_alu depctr_sa_sdst(0)
	s_and_b32 vcc_lo, exec_lo, s0
	s_wait_alu depctr_sa_sdst(0)
	s_cbranch_vccnz .LBB0_89
; %bb.88:
	.loc	1 58 60 is_stmt 1               ; persistent_matmul.py:58:60
	s_wait_kmcnt 0x0
	v_mad_co_u64_u32 v[47:48], null, s100, s62, v[128:129]
	s_delay_alu instid0(VALU_DEP_1) | instskip(NEXT) | instid1(VALU_DEP_1)
	.loc	1 58 30 is_stmt 0               ; persistent_matmul.py:58:30
	v_ashrrev_i32_e32 v48, 31, v47
	v_lshlrev_b64_e32 v[47:48], 1, v[47:48]
	s_delay_alu instid0(VALU_DEP_1) | instskip(SKIP_1) | instid1(VALU_DEP_2)
	v_add_co_u32 v47, vcc_lo, s30, v47
	s_wait_alu depctr_va_vcc(0)
	v_add_co_ci_u32_e64 v48, null, s31, v48, vcc_lo
	.loc	1 61 24 is_stmt 1               ; persistent_matmul.py:61:24
	global_load_u16 v45, v[47:48], off
.LBB0_89:
	.loc	1 40 35                         ; persistent_matmul.py:40:35
	s_or_b32 s64, s101, 24
	v_dual_mov_b32 v47, 0 :: v_dual_mov_b32 v48, 0
	.loc	1 61 64                         ; persistent_matmul.py:61:64
	s_wait_alu depctr_sa_sdst(0)
	s_cmp_ge_i32 s64, s40
	s_cselect_b32 s0, -1, 0
	.loc	1 61 24 is_stmt 0               ; persistent_matmul.py:61:24
	s_wait_alu depctr_sa_sdst(0)
	s_or_b32 s0, s0, s44
	s_wait_alu depctr_sa_sdst(0)
	s_and_b32 vcc_lo, exec_lo, s0
	s_wait_alu depctr_sa_sdst(0)
	s_cbranch_vccnz .LBB0_91
; %bb.90:
	.loc	1 58 60 is_stmt 1               ; persistent_matmul.py:58:60
	s_wait_kmcnt 0x0
	v_mad_co_u64_u32 v[48:49], null, s100, s64, v[128:129]
	s_delay_alu instid0(VALU_DEP_1) | instskip(NEXT) | instid1(VALU_DEP_1)
	.loc	1 58 30 is_stmt 0               ; persistent_matmul.py:58:30
	v_ashrrev_i32_e32 v49, 31, v48
	v_lshlrev_b64_e32 v[48:49], 1, v[48:49]
	s_delay_alu instid0(VALU_DEP_1) | instskip(SKIP_1) | instid1(VALU_DEP_2)
	v_add_co_u32 v48, vcc_lo, s30, v48
	s_wait_alu depctr_va_vcc(0)
	v_add_co_ci_u32_e64 v49, null, s31, v49, vcc_lo
	.loc	1 61 24 is_stmt 1               ; persistent_matmul.py:61:24
	global_load_u16 v48, v[48:49], off
.LBB0_91:
	.loc	1 40 35                         ; persistent_matmul.py:40:35
	s_or_b32 s66, s101, 26
	.loc	1 61 64                         ; persistent_matmul.py:61:64
	s_wait_alu depctr_sa_sdst(0)
	s_cmp_ge_i32 s66, s40
	s_cselect_b32 s0, -1, 0
	.loc	1 61 24 is_stmt 0               ; persistent_matmul.py:61:24
	s_wait_alu depctr_sa_sdst(0)
	s_or_b32 s0, s0, s44
	s_wait_alu depctr_sa_sdst(0)
	s_and_b32 vcc_lo, exec_lo, s0
	s_wait_alu depctr_sa_sdst(0)
	s_cbranch_vccnz .LBB0_93
; %bb.92:
	.loc	1 58 60 is_stmt 1               ; persistent_matmul.py:58:60
	s_wait_kmcnt 0x0
	v_mad_co_u64_u32 v[49:50], null, s100, s66, v[128:129]
	s_delay_alu instid0(VALU_DEP_1) | instskip(NEXT) | instid1(VALU_DEP_1)
	.loc	1 58 30 is_stmt 0               ; persistent_matmul.py:58:30
	v_ashrrev_i32_e32 v50, 31, v49
	v_lshlrev_b64_e32 v[49:50], 1, v[49:50]
	s_delay_alu instid0(VALU_DEP_1) | instskip(SKIP_1) | instid1(VALU_DEP_2)
	v_add_co_u32 v49, vcc_lo, s30, v49
	s_wait_alu depctr_va_vcc(0)
	v_add_co_ci_u32_e64 v50, null, s31, v50, vcc_lo
	.loc	1 61 24 is_stmt 1               ; persistent_matmul.py:61:24
	global_load_u16 v47, v[49:50], off
.LBB0_93:
	.loc	1 40 35                         ; persistent_matmul.py:40:35
	s_or_b32 s68, s101, 28
	v_dual_mov_b32 v49, 0 :: v_dual_mov_b32 v50, 0
	.loc	1 61 64                         ; persistent_matmul.py:61:64
	s_wait_alu depctr_sa_sdst(0)
	s_cmp_ge_i32 s68, s40
	s_cselect_b32 s0, -1, 0
	.loc	1 61 24 is_stmt 0               ; persistent_matmul.py:61:24
	s_wait_alu depctr_sa_sdst(0)
	s_or_b32 s0, s0, s44
	s_wait_alu depctr_sa_sdst(0)
	s_and_b32 vcc_lo, exec_lo, s0
	s_wait_alu depctr_sa_sdst(0)
	s_cbranch_vccnz .LBB0_95
; %bb.94:
	.loc	1 58 60 is_stmt 1               ; persistent_matmul.py:58:60
	s_wait_kmcnt 0x0
	v_mad_co_u64_u32 v[50:51], null, s100, s68, v[128:129]
	s_delay_alu instid0(VALU_DEP_1) | instskip(NEXT) | instid1(VALU_DEP_1)
	.loc	1 58 30 is_stmt 0               ; persistent_matmul.py:58:30
	v_ashrrev_i32_e32 v51, 31, v50
	v_lshlrev_b64_e32 v[50:51], 1, v[50:51]
	s_delay_alu instid0(VALU_DEP_1) | instskip(SKIP_1) | instid1(VALU_DEP_2)
	v_add_co_u32 v50, vcc_lo, s30, v50
	s_wait_alu depctr_va_vcc(0)
	v_add_co_ci_u32_e64 v51, null, s31, v51, vcc_lo
	.loc	1 61 24 is_stmt 1               ; persistent_matmul.py:61:24
	global_load_u16 v50, v[50:51], off
.LBB0_95:
	.loc	1 40 35                         ; persistent_matmul.py:40:35
	s_or_b32 s70, s101, 30
	.loc	1 61 64                         ; persistent_matmul.py:61:64
	s_wait_alu depctr_sa_sdst(0)
	s_cmp_ge_i32 s70, s40
	s_cselect_b32 s0, -1, 0
	.loc	1 61 24 is_stmt 0               ; persistent_matmul.py:61:24
	s_wait_alu depctr_sa_sdst(0)
	s_or_b32 s0, s0, s44
	s_wait_alu depctr_sa_sdst(0)
	s_and_b32 vcc_lo, exec_lo, s0
	s_wait_alu depctr_sa_sdst(0)
	s_cbranch_vccnz .LBB0_97
; %bb.96:
	.loc	1 58 60 is_stmt 1               ; persistent_matmul.py:58:60
	s_wait_kmcnt 0x0
	v_mad_co_u64_u32 v[51:52], null, s100, s70, v[128:129]
	s_delay_alu instid0(VALU_DEP_1) | instskip(NEXT) | instid1(VALU_DEP_1)
	.loc	1 58 30 is_stmt 0               ; persistent_matmul.py:58:30
	v_ashrrev_i32_e32 v52, 31, v51
	v_lshlrev_b64_e32 v[51:52], 1, v[51:52]
	s_delay_alu instid0(VALU_DEP_1) | instskip(SKIP_1) | instid1(VALU_DEP_2)
	v_add_co_u32 v51, vcc_lo, s30, v51
	s_wait_alu depctr_va_vcc(0)
	v_add_co_ci_u32_e64 v52, null, s31, v52, vcc_lo
	.loc	1 61 24 is_stmt 1               ; persistent_matmul.py:61:24
	global_load_u16 v49, v[51:52], off
.LBB0_97:
	.loc	1 40 35                         ; persistent_matmul.py:40:35
	s_or_b32 s72, s101, 32
	v_dual_mov_b32 v51, 0 :: v_dual_mov_b32 v52, 0
	.loc	1 61 64                         ; persistent_matmul.py:61:64
	s_wait_alu depctr_sa_sdst(0)
	s_cmp_ge_i32 s72, s40
	s_cselect_b32 s0, -1, 0
	.loc	1 61 24 is_stmt 0               ; persistent_matmul.py:61:24
	s_wait_alu depctr_sa_sdst(0)
	s_or_b32 s0, s0, s44
	s_wait_alu depctr_sa_sdst(0)
	s_and_b32 vcc_lo, exec_lo, s0
	s_wait_alu depctr_sa_sdst(0)
	s_cbranch_vccnz .LBB0_99
; %bb.98:
	.loc	1 58 60 is_stmt 1               ; persistent_matmul.py:58:60
	s_wait_kmcnt 0x0
	v_mad_co_u64_u32 v[52:53], null, s100, s72, v[128:129]
	s_delay_alu instid0(VALU_DEP_1) | instskip(NEXT) | instid1(VALU_DEP_1)
	.loc	1 58 30 is_stmt 0               ; persistent_matmul.py:58:30
	v_ashrrev_i32_e32 v53, 31, v52
	v_lshlrev_b64_e32 v[52:53], 1, v[52:53]
	s_delay_alu instid0(VALU_DEP_1) | instskip(SKIP_1) | instid1(VALU_DEP_2)
	v_add_co_u32 v52, vcc_lo, s30, v52
	s_wait_alu depctr_va_vcc(0)
	v_add_co_ci_u32_e64 v53, null, s31, v53, vcc_lo
	.loc	1 61 24 is_stmt 1               ; persistent_matmul.py:61:24
	global_load_u16 v52, v[52:53], off
.LBB0_99:
	.loc	1 40 35                         ; persistent_matmul.py:40:35
	s_or_b32 s74, s101, 34
	.loc	1 61 64                         ; persistent_matmul.py:61:64
	s_wait_alu depctr_sa_sdst(0)
	s_cmp_ge_i32 s74, s40
	s_cselect_b32 s0, -1, 0
	.loc	1 61 24 is_stmt 0               ; persistent_matmul.py:61:24
	s_wait_alu depctr_sa_sdst(0)
	s_or_b32 s0, s0, s44
	s_wait_alu depctr_sa_sdst(0)
	s_and_b32 vcc_lo, exec_lo, s0
	s_wait_alu depctr_sa_sdst(0)
	s_cbranch_vccnz .LBB0_101
; %bb.100:
	.loc	1 58 60 is_stmt 1               ; persistent_matmul.py:58:60
	s_wait_kmcnt 0x0
	v_mad_co_u64_u32 v[53:54], null, s100, s74, v[128:129]
	s_delay_alu instid0(VALU_DEP_1) | instskip(NEXT) | instid1(VALU_DEP_1)
	.loc	1 58 30 is_stmt 0               ; persistent_matmul.py:58:30
	v_ashrrev_i32_e32 v54, 31, v53
	v_lshlrev_b64_e32 v[53:54], 1, v[53:54]
	s_delay_alu instid0(VALU_DEP_1) | instskip(SKIP_1) | instid1(VALU_DEP_2)
	v_add_co_u32 v53, vcc_lo, s30, v53
	s_wait_alu depctr_va_vcc(0)
	v_add_co_ci_u32_e64 v54, null, s31, v54, vcc_lo
	.loc	1 61 24 is_stmt 1               ; persistent_matmul.py:61:24
	global_load_u16 v51, v[53:54], off
.LBB0_101:
	.loc	1 40 35                         ; persistent_matmul.py:40:35
	s_or_b32 s76, s101, 36
	v_dual_mov_b32 v53, 0 :: v_dual_mov_b32 v54, 0
	.loc	1 61 64                         ; persistent_matmul.py:61:64
	s_wait_alu depctr_sa_sdst(0)
	s_cmp_ge_i32 s76, s40
	s_cselect_b32 s0, -1, 0
	.loc	1 61 24 is_stmt 0               ; persistent_matmul.py:61:24
	s_wait_alu depctr_sa_sdst(0)
	s_or_b32 s0, s0, s44
	s_wait_alu depctr_sa_sdst(0)
	s_and_b32 vcc_lo, exec_lo, s0
	s_wait_alu depctr_sa_sdst(0)
	s_cbranch_vccnz .LBB0_103
; %bb.102:
	.loc	1 58 60 is_stmt 1               ; persistent_matmul.py:58:60
	s_wait_kmcnt 0x0
	v_mad_co_u64_u32 v[54:55], null, s100, s76, v[128:129]
	s_delay_alu instid0(VALU_DEP_1) | instskip(NEXT) | instid1(VALU_DEP_1)
	.loc	1 58 30 is_stmt 0               ; persistent_matmul.py:58:30
	v_ashrrev_i32_e32 v55, 31, v54
	v_lshlrev_b64_e32 v[54:55], 1, v[54:55]
	s_delay_alu instid0(VALU_DEP_1) | instskip(SKIP_1) | instid1(VALU_DEP_2)
	v_add_co_u32 v54, vcc_lo, s30, v54
	s_wait_alu depctr_va_vcc(0)
	v_add_co_ci_u32_e64 v55, null, s31, v55, vcc_lo
	.loc	1 61 24 is_stmt 1               ; persistent_matmul.py:61:24
	global_load_u16 v54, v[54:55], off
.LBB0_103:
	.loc	1 40 35                         ; persistent_matmul.py:40:35
	s_or_b32 s78, s101, 38
	.loc	1 61 64                         ; persistent_matmul.py:61:64
	s_wait_alu depctr_sa_sdst(0)
	s_cmp_ge_i32 s78, s40
	s_cselect_b32 s0, -1, 0
	.loc	1 61 24 is_stmt 0               ; persistent_matmul.py:61:24
	s_wait_alu depctr_sa_sdst(0)
	s_or_b32 s0, s0, s44
	s_wait_alu depctr_sa_sdst(0)
	s_and_b32 vcc_lo, exec_lo, s0
	s_wait_alu depctr_sa_sdst(0)
	s_cbranch_vccnz .LBB0_105
; %bb.104:
	.loc	1 58 60 is_stmt 1               ; persistent_matmul.py:58:60
	s_wait_kmcnt 0x0
	v_mad_co_u64_u32 v[55:56], null, s100, s78, v[128:129]
	s_delay_alu instid0(VALU_DEP_1) | instskip(NEXT) | instid1(VALU_DEP_1)
	.loc	1 58 30 is_stmt 0               ; persistent_matmul.py:58:30
	v_ashrrev_i32_e32 v56, 31, v55
	v_lshlrev_b64_e32 v[55:56], 1, v[55:56]
	s_delay_alu instid0(VALU_DEP_1) | instskip(SKIP_1) | instid1(VALU_DEP_2)
	v_add_co_u32 v55, vcc_lo, s30, v55
	s_wait_alu depctr_va_vcc(0)
	v_add_co_ci_u32_e64 v56, null, s31, v56, vcc_lo
	.loc	1 61 24 is_stmt 1               ; persistent_matmul.py:61:24
	global_load_u16 v53, v[55:56], off
.LBB0_105:
	.loc	1 40 35                         ; persistent_matmul.py:40:35
	s_or_b32 s80, s101, 40
	v_dual_mov_b32 v55, 0 :: v_dual_mov_b32 v56, 0
	.loc	1 61 64                         ; persistent_matmul.py:61:64
	s_wait_alu depctr_sa_sdst(0)
	s_cmp_ge_i32 s80, s40
	s_cselect_b32 s0, -1, 0
	.loc	1 61 24 is_stmt 0               ; persistent_matmul.py:61:24
	s_wait_alu depctr_sa_sdst(0)
	s_or_b32 s0, s0, s44
	s_wait_alu depctr_sa_sdst(0)
	s_and_b32 vcc_lo, exec_lo, s0
	s_wait_alu depctr_sa_sdst(0)
	s_cbranch_vccnz .LBB0_107
; %bb.106:
	.loc	1 58 60 is_stmt 1               ; persistent_matmul.py:58:60
	s_wait_kmcnt 0x0
	v_mad_co_u64_u32 v[56:57], null, s100, s80, v[128:129]
	s_delay_alu instid0(VALU_DEP_1) | instskip(NEXT) | instid1(VALU_DEP_1)
	.loc	1 58 30 is_stmt 0               ; persistent_matmul.py:58:30
	v_ashrrev_i32_e32 v57, 31, v56
	v_lshlrev_b64_e32 v[56:57], 1, v[56:57]
	s_delay_alu instid0(VALU_DEP_1) | instskip(SKIP_1) | instid1(VALU_DEP_2)
	v_add_co_u32 v56, vcc_lo, s30, v56
	s_wait_alu depctr_va_vcc(0)
	v_add_co_ci_u32_e64 v57, null, s31, v57, vcc_lo
	.loc	1 61 24 is_stmt 1               ; persistent_matmul.py:61:24
	global_load_u16 v56, v[56:57], off
.LBB0_107:
	.loc	1 40 35                         ; persistent_matmul.py:40:35
	s_or_b32 s82, s101, 42
	.loc	1 61 64                         ; persistent_matmul.py:61:64
	s_wait_alu depctr_sa_sdst(0)
	s_cmp_ge_i32 s82, s40
	s_cselect_b32 s0, -1, 0
	.loc	1 61 24 is_stmt 0               ; persistent_matmul.py:61:24
	s_wait_alu depctr_sa_sdst(0)
	s_or_b32 s0, s0, s44
	s_wait_alu depctr_sa_sdst(0)
	s_and_b32 vcc_lo, exec_lo, s0
	s_wait_alu depctr_sa_sdst(0)
	s_cbranch_vccnz .LBB0_109
; %bb.108:
	.loc	1 58 60 is_stmt 1               ; persistent_matmul.py:58:60
	s_wait_kmcnt 0x0
	v_mad_co_u64_u32 v[57:58], null, s100, s82, v[128:129]
	s_delay_alu instid0(VALU_DEP_1) | instskip(NEXT) | instid1(VALU_DEP_1)
	.loc	1 58 30 is_stmt 0               ; persistent_matmul.py:58:30
	v_ashrrev_i32_e32 v58, 31, v57
	v_lshlrev_b64_e32 v[57:58], 1, v[57:58]
	s_delay_alu instid0(VALU_DEP_1) | instskip(SKIP_1) | instid1(VALU_DEP_2)
	v_add_co_u32 v57, vcc_lo, s30, v57
	s_wait_alu depctr_va_vcc(0)
	v_add_co_ci_u32_e64 v58, null, s31, v58, vcc_lo
	.loc	1 61 24 is_stmt 1               ; persistent_matmul.py:61:24
	global_load_u16 v55, v[57:58], off
.LBB0_109:
	.loc	1 40 35                         ; persistent_matmul.py:40:35
	s_or_b32 s84, s101, 44
	v_dual_mov_b32 v57, 0 :: v_dual_mov_b32 v58, 0
	.loc	1 61 64                         ; persistent_matmul.py:61:64
	s_wait_alu depctr_sa_sdst(0)
	s_cmp_ge_i32 s84, s40
	s_cselect_b32 s0, -1, 0
	.loc	1 61 24 is_stmt 0               ; persistent_matmul.py:61:24
	s_wait_alu depctr_sa_sdst(0)
	s_or_b32 s0, s0, s44
	s_wait_alu depctr_sa_sdst(0)
	s_and_b32 vcc_lo, exec_lo, s0
	s_wait_alu depctr_sa_sdst(0)
	s_cbranch_vccnz .LBB0_111
; %bb.110:
	.loc	1 58 60 is_stmt 1               ; persistent_matmul.py:58:60
	s_wait_kmcnt 0x0
	v_mad_co_u64_u32 v[58:59], null, s100, s84, v[128:129]
	s_delay_alu instid0(VALU_DEP_1) | instskip(NEXT) | instid1(VALU_DEP_1)
	.loc	1 58 30 is_stmt 0               ; persistent_matmul.py:58:30
	v_ashrrev_i32_e32 v59, 31, v58
	v_lshlrev_b64_e32 v[58:59], 1, v[58:59]
	s_delay_alu instid0(VALU_DEP_1) | instskip(SKIP_1) | instid1(VALU_DEP_2)
	v_add_co_u32 v58, vcc_lo, s30, v58
	s_wait_alu depctr_va_vcc(0)
	v_add_co_ci_u32_e64 v59, null, s31, v59, vcc_lo
	.loc	1 61 24 is_stmt 1               ; persistent_matmul.py:61:24
	global_load_u16 v58, v[58:59], off
.LBB0_111:
	.loc	1 40 35                         ; persistent_matmul.py:40:35
	s_or_b32 s86, s101, 46
	.loc	1 61 64                         ; persistent_matmul.py:61:64
	s_wait_alu depctr_sa_sdst(0)
	s_cmp_ge_i32 s86, s40
	s_cselect_b32 s0, -1, 0
	.loc	1 61 24 is_stmt 0               ; persistent_matmul.py:61:24
	s_wait_alu depctr_sa_sdst(0)
	s_or_b32 s0, s0, s44
	s_wait_alu depctr_sa_sdst(0)
	s_and_b32 vcc_lo, exec_lo, s0
	s_wait_alu depctr_sa_sdst(0)
	s_cbranch_vccnz .LBB0_113
; %bb.112:
	.loc	1 58 60 is_stmt 1               ; persistent_matmul.py:58:60
	s_wait_kmcnt 0x0
	v_mad_co_u64_u32 v[59:60], null, s100, s86, v[128:129]
	s_delay_alu instid0(VALU_DEP_1) | instskip(NEXT) | instid1(VALU_DEP_1)
	.loc	1 58 30 is_stmt 0               ; persistent_matmul.py:58:30
	v_ashrrev_i32_e32 v60, 31, v59
	v_lshlrev_b64_e32 v[59:60], 1, v[59:60]
	s_delay_alu instid0(VALU_DEP_1) | instskip(SKIP_1) | instid1(VALU_DEP_2)
	v_add_co_u32 v59, vcc_lo, s30, v59
	s_wait_alu depctr_va_vcc(0)
	v_add_co_ci_u32_e64 v60, null, s31, v60, vcc_lo
	.loc	1 61 24 is_stmt 1               ; persistent_matmul.py:61:24
	global_load_u16 v57, v[59:60], off
.LBB0_113:
	.loc	1 40 35                         ; persistent_matmul.py:40:35
	s_or_b32 s88, s101, 48
	v_dual_mov_b32 v59, 0 :: v_dual_mov_b32 v60, 0
	.loc	1 61 64                         ; persistent_matmul.py:61:64
	s_wait_alu depctr_sa_sdst(0)
	s_cmp_ge_i32 s88, s40
	s_cselect_b32 s0, -1, 0
	.loc	1 61 24 is_stmt 0               ; persistent_matmul.py:61:24
	s_wait_alu depctr_sa_sdst(0)
	s_or_b32 s0, s0, s44
	s_wait_alu depctr_sa_sdst(0)
	s_and_b32 vcc_lo, exec_lo, s0
	s_wait_alu depctr_sa_sdst(0)
	s_cbranch_vccnz .LBB0_115
; %bb.114:
	.loc	1 58 60 is_stmt 1               ; persistent_matmul.py:58:60
	s_wait_kmcnt 0x0
	v_mad_co_u64_u32 v[60:61], null, s100, s88, v[128:129]
	s_delay_alu instid0(VALU_DEP_1) | instskip(NEXT) | instid1(VALU_DEP_1)
	.loc	1 58 30 is_stmt 0               ; persistent_matmul.py:58:30
	v_ashrrev_i32_e32 v61, 31, v60
	v_lshlrev_b64_e32 v[60:61], 1, v[60:61]
	s_delay_alu instid0(VALU_DEP_1) | instskip(SKIP_1) | instid1(VALU_DEP_2)
	v_add_co_u32 v60, vcc_lo, s30, v60
	s_wait_alu depctr_va_vcc(0)
	v_add_co_ci_u32_e64 v61, null, s31, v61, vcc_lo
	.loc	1 61 24 is_stmt 1               ; persistent_matmul.py:61:24
	global_load_u16 v60, v[60:61], off
.LBB0_115:
	.loc	1 40 35                         ; persistent_matmul.py:40:35
	s_or_b32 s90, s101, 50
	.loc	1 61 64                         ; persistent_matmul.py:61:64
	s_wait_alu depctr_sa_sdst(0)
	s_cmp_ge_i32 s90, s40
	s_cselect_b32 s0, -1, 0
	.loc	1 61 24 is_stmt 0               ; persistent_matmul.py:61:24
	s_wait_alu depctr_sa_sdst(0)
	s_or_b32 s0, s0, s44
	s_wait_alu depctr_sa_sdst(0)
	s_and_b32 vcc_lo, exec_lo, s0
	s_wait_alu depctr_sa_sdst(0)
	s_cbranch_vccnz .LBB0_117
; %bb.116:
	.loc	1 58 60 is_stmt 1               ; persistent_matmul.py:58:60
	s_wait_kmcnt 0x0
	v_mad_co_u64_u32 v[61:62], null, s100, s90, v[128:129]
	s_delay_alu instid0(VALU_DEP_1) | instskip(NEXT) | instid1(VALU_DEP_1)
	.loc	1 58 30 is_stmt 0               ; persistent_matmul.py:58:30
	v_ashrrev_i32_e32 v62, 31, v61
	v_lshlrev_b64_e32 v[61:62], 1, v[61:62]
	s_delay_alu instid0(VALU_DEP_1) | instskip(SKIP_1) | instid1(VALU_DEP_2)
	v_add_co_u32 v61, vcc_lo, s30, v61
	s_wait_alu depctr_va_vcc(0)
	v_add_co_ci_u32_e64 v62, null, s31, v62, vcc_lo
	.loc	1 61 24 is_stmt 1               ; persistent_matmul.py:61:24
	global_load_u16 v59, v[61:62], off
.LBB0_117:
	.loc	1 40 35                         ; persistent_matmul.py:40:35
	s_or_b32 s92, s101, 52
	v_dual_mov_b32 v61, 0 :: v_dual_mov_b32 v62, 0
	.loc	1 61 64                         ; persistent_matmul.py:61:64
	s_wait_alu depctr_sa_sdst(0)
	s_cmp_ge_i32 s92, s40
	s_cselect_b32 s0, -1, 0
	.loc	1 61 24 is_stmt 0               ; persistent_matmul.py:61:24
	s_wait_alu depctr_sa_sdst(0)
	s_or_b32 s0, s0, s44
	s_wait_alu depctr_sa_sdst(0)
	s_and_b32 vcc_lo, exec_lo, s0
	s_wait_alu depctr_sa_sdst(0)
	s_cbranch_vccnz .LBB0_119
; %bb.118:
	.loc	1 58 60 is_stmt 1               ; persistent_matmul.py:58:60
	s_wait_kmcnt 0x0
	v_mad_co_u64_u32 v[62:63], null, s100, s92, v[128:129]
	s_delay_alu instid0(VALU_DEP_1) | instskip(NEXT) | instid1(VALU_DEP_1)
	.loc	1 58 30 is_stmt 0               ; persistent_matmul.py:58:30
	v_ashrrev_i32_e32 v63, 31, v62
	v_lshlrev_b64_e32 v[62:63], 1, v[62:63]
	s_delay_alu instid0(VALU_DEP_1) | instskip(SKIP_1) | instid1(VALU_DEP_2)
	v_add_co_u32 v62, vcc_lo, s30, v62
	s_wait_alu depctr_va_vcc(0)
	v_add_co_ci_u32_e64 v63, null, s31, v63, vcc_lo
	.loc	1 61 24 is_stmt 1               ; persistent_matmul.py:61:24
	global_load_u16 v62, v[62:63], off
.LBB0_119:
	.loc	1 40 35                         ; persistent_matmul.py:40:35
	s_or_b32 s94, s101, 54
	.loc	1 61 64                         ; persistent_matmul.py:61:64
	s_wait_alu depctr_sa_sdst(0)
	s_cmp_ge_i32 s94, s40
	s_cselect_b32 s0, -1, 0
	.loc	1 61 24 is_stmt 0               ; persistent_matmul.py:61:24
	s_wait_alu depctr_sa_sdst(0)
	s_or_b32 s0, s0, s44
	s_wait_alu depctr_sa_sdst(0)
	s_and_b32 vcc_lo, exec_lo, s0
	s_wait_alu depctr_sa_sdst(0)
	s_cbranch_vccnz .LBB0_121
; %bb.120:
	.loc	1 58 60 is_stmt 1               ; persistent_matmul.py:58:60
	s_wait_kmcnt 0x0
	v_mad_co_u64_u32 v[63:64], null, s100, s94, v[128:129]
	s_delay_alu instid0(VALU_DEP_1) | instskip(NEXT) | instid1(VALU_DEP_1)
	.loc	1 58 30 is_stmt 0               ; persistent_matmul.py:58:30
	v_ashrrev_i32_e32 v64, 31, v63
	v_lshlrev_b64_e32 v[63:64], 1, v[63:64]
	s_delay_alu instid0(VALU_DEP_1) | instskip(SKIP_1) | instid1(VALU_DEP_2)
	v_add_co_u32 v63, vcc_lo, s30, v63
	s_wait_alu depctr_va_vcc(0)
	v_add_co_ci_u32_e64 v64, null, s31, v64, vcc_lo
	.loc	1 61 24 is_stmt 1               ; persistent_matmul.py:61:24
	global_load_u16 v61, v[63:64], off
.LBB0_121:
	.loc	1 40 35                         ; persistent_matmul.py:40:35
	s_or_b32 s96, s101, 56
	v_dual_mov_b32 v63, 0 :: v_dual_mov_b32 v64, 0
	.loc	1 61 64                         ; persistent_matmul.py:61:64
	s_cmp_ge_i32 s96, s40
	s_cselect_b32 s0, -1, 0
	.loc	1 61 24 is_stmt 0               ; persistent_matmul.py:61:24
	s_wait_alu depctr_sa_sdst(0)
	s_or_b32 s0, s0, s44
	s_wait_alu depctr_sa_sdst(0)
	s_and_b32 vcc_lo, exec_lo, s0
	s_wait_alu depctr_sa_sdst(0)
	s_cbranch_vccnz .LBB0_123
; %bb.122:
	.loc	1 58 60 is_stmt 1               ; persistent_matmul.py:58:60
	s_wait_kmcnt 0x0
	v_mad_co_u64_u32 v[64:65], null, s100, s96, v[128:129]
	s_delay_alu instid0(VALU_DEP_1) | instskip(NEXT) | instid1(VALU_DEP_1)
	.loc	1 58 30 is_stmt 0               ; persistent_matmul.py:58:30
	v_ashrrev_i32_e32 v65, 31, v64
	v_lshlrev_b64_e32 v[64:65], 1, v[64:65]
	s_delay_alu instid0(VALU_DEP_1) | instskip(SKIP_1) | instid1(VALU_DEP_2)
	v_add_co_u32 v64, vcc_lo, s30, v64
	s_wait_alu depctr_va_vcc(0)
	v_add_co_ci_u32_e64 v65, null, s31, v65, vcc_lo
	.loc	1 61 24 is_stmt 1               ; persistent_matmul.py:61:24
	global_load_u16 v64, v[64:65], off
.LBB0_123:
	.loc	1 40 35                         ; persistent_matmul.py:40:35
	s_or_b32 s97, s101, 58
	.loc	1 61 64                         ; persistent_matmul.py:61:64
	s_wait_alu depctr_sa_sdst(0)
	s_cmp_ge_i32 s97, s40
	s_cselect_b32 s0, -1, 0
	.loc	1 61 24 is_stmt 0               ; persistent_matmul.py:61:24
	s_wait_alu depctr_sa_sdst(0)
	s_or_b32 s0, s0, s44
	s_wait_alu depctr_sa_sdst(0)
	s_and_b32 vcc_lo, exec_lo, s0
	s_wait_alu depctr_sa_sdst(0)
	s_cbranch_vccnz .LBB0_125
; %bb.124:
	.loc	1 58 60 is_stmt 1               ; persistent_matmul.py:58:60
	s_wait_kmcnt 0x0
	v_mad_co_u64_u32 v[65:66], null, s100, s97, v[128:129]
	s_delay_alu instid0(VALU_DEP_1) | instskip(NEXT) | instid1(VALU_DEP_1)
	.loc	1 58 30 is_stmt 0               ; persistent_matmul.py:58:30
	v_ashrrev_i32_e32 v66, 31, v65
	v_lshlrev_b64_e32 v[65:66], 1, v[65:66]
	s_delay_alu instid0(VALU_DEP_1) | instskip(SKIP_1) | instid1(VALU_DEP_2)
	v_add_co_u32 v65, vcc_lo, s30, v65
	s_wait_alu depctr_va_vcc(0)
	v_add_co_ci_u32_e64 v66, null, s31, v66, vcc_lo
	.loc	1 61 24 is_stmt 1               ; persistent_matmul.py:61:24
	global_load_u16 v63, v[65:66], off
.LBB0_125:
	.loc	1 40 35                         ; persistent_matmul.py:40:35
	s_or_b32 s34, s101, 60
	v_dual_mov_b32 v65, 0 :: v_dual_mov_b32 v66, 0
	.loc	1 61 64                         ; persistent_matmul.py:61:64
	s_cmp_ge_i32 s34, s40
	s_cselect_b32 s0, -1, 0
	.loc	1 61 24 is_stmt 0               ; persistent_matmul.py:61:24
	s_wait_alu depctr_sa_sdst(0)
	s_or_b32 s0, s0, s44
	s_wait_alu depctr_sa_sdst(0)
	s_and_b32 vcc_lo, exec_lo, s0
	s_wait_alu depctr_sa_sdst(0)
	s_cbranch_vccnz .LBB0_127
; %bb.126:
	.loc	1 58 60 is_stmt 1               ; persistent_matmul.py:58:60
	s_wait_kmcnt 0x0
	v_mad_co_u64_u32 v[66:67], null, s100, s34, v[128:129]
	s_delay_alu instid0(VALU_DEP_1) | instskip(NEXT) | instid1(VALU_DEP_1)
	.loc	1 58 30 is_stmt 0               ; persistent_matmul.py:58:30
	v_ashrrev_i32_e32 v67, 31, v66
	v_lshlrev_b64_e32 v[66:67], 1, v[66:67]
	s_delay_alu instid0(VALU_DEP_1) | instskip(SKIP_1) | instid1(VALU_DEP_2)
	v_add_co_u32 v66, vcc_lo, s30, v66
	s_wait_alu depctr_va_vcc(0)
	v_add_co_ci_u32_e64 v67, null, s31, v67, vcc_lo
	.loc	1 61 24 is_stmt 1               ; persistent_matmul.py:61:24
	global_load_u16 v66, v[66:67], off
.LBB0_127:
	.loc	1 40 35                         ; persistent_matmul.py:40:35
	s_or_b32 s37, s101, 62
	s_and_b32 s0, s15, 0xc0
	.loc	1 61 64                         ; persistent_matmul.py:61:64
	s_cmp_ge_i32 s37, s40
	s_cselect_b32 s1, -1, 0
	.loc	1 61 24 is_stmt 0               ; persistent_matmul.py:61:24
	s_wait_alu depctr_sa_sdst(0)
	s_or_b32 s1, s1, s44
	s_wait_alu depctr_sa_sdst(0)
	s_and_b32 vcc_lo, exec_lo, s1
	s_wait_alu depctr_sa_sdst(0)
	s_cbranch_vccnz .LBB0_129
; %bb.128:
	.loc	1 58 60 is_stmt 1               ; persistent_matmul.py:58:60
	s_wait_kmcnt 0x0
	v_mad_co_u64_u32 v[67:68], null, s100, s37, v[128:129]
	s_delay_alu instid0(VALU_DEP_1) | instskip(NEXT) | instid1(VALU_DEP_1)
	.loc	1 58 30 is_stmt 0               ; persistent_matmul.py:58:30
	v_ashrrev_i32_e32 v68, 31, v67
	v_lshlrev_b64_e32 v[67:68], 1, v[67:68]
	s_delay_alu instid0(VALU_DEP_1) | instskip(SKIP_1) | instid1(VALU_DEP_2)
	v_add_co_u32 v67, vcc_lo, s30, v67
	s_wait_alu depctr_va_vcc(0)
	v_add_co_ci_u32_e64 v68, null, s31, v68, vcc_lo
	.loc	1 61 24 is_stmt 1               ; persistent_matmul.py:61:24
	global_load_u16 v65, v[67:68], off
.LBB0_129:
	.loc	1 60 24                         ; persistent_matmul.py:60:24
	v_lshlrev_b32_e32 v67, 1, v1
	s_lshr_b32 s0, s0, 2
	v_lshlrev_b32_e32 v152, 7, v2
	v_lshlrev_b32_e32 v153, 4, v1
	v_and_b32_e32 v151, 16, v0
	v_and_b32_e32 v67, 0x1fe, v67
	v_lshlrev_b32_e32 v154, 1, v2
	.loc	1 43 59                         ; persistent_matmul.py:43:59
	s_add_co_i32 s24, s8, -1
	s_add_co_i32 s42, s42, -1
	.loc	1 60 24                         ; persistent_matmul.py:60:24
	s_mov_b32 s61, 0
	s_wait_alu depctr_sa_sdst(0)
	v_xor_b32_e32 v68, s0, v67
	v_readlane_b32 s0, v241, 0
	v_readlane_b32 s1, v241, 1
	s_mov_b32 s1, s3
	.loc	1 61 24                         ; persistent_matmul.py:61:24
	v_add_nc_u32_e32 v157, 0, v67
	.loc	1 60 24                         ; persistent_matmul.py:60:24
	v_add_nc_u32_e32 v155, 0, v68
	.loc	1 43 59                         ; persistent_matmul.py:43:59
	v_writelane_b32 v241, s0, 0
	s_cmp_lt_i32 s24, 1
	.loc	1 60 24                         ; persistent_matmul.py:60:24
	s_wait_loadcnt 0x0
	ds_store_b16 v155, v4
	ds_store_b16 v155, v6 offset:1024
	ds_store_b16 v155, v8 offset:2048
	ds_store_b16 v155, v10 offset:3072
	ds_store_b16 v155, v12 offset:4096
	ds_store_b16 v155, v14 offset:5120
	ds_store_b16 v155, v16 offset:6144
	ds_store_b16 v155, v18 offset:7168
	ds_store_b16 v155, v20 offset:8192
	ds_store_b16 v155, v22 offset:9216
	ds_store_b16 v155, v24 offset:10240
	ds_store_b16 v155, v26 offset:11264
	ds_store_b16 v155, v28 offset:12288
	ds_store_b16 v155, v30 offset:13312
	ds_store_b16 v155, v32 offset:14336
	ds_store_b16 v155, v34 offset:15360
	v_xor_b32_e32 v4, 64, v68
	.loc	1 43 59                         ; persistent_matmul.py:43:59
	s_wait_alu depctr_sa_sdst(0)
	v_writelane_b32 v241, s1, 1
	s_delay_alu instid0(VALU_DEP_2)
	.loc	1 60 24                         ; persistent_matmul.py:60:24
	v_add_nc_u32_e32 v156, 0, v4
	ds_store_b16 v156, v3 offset:512
	ds_store_b16 v156, v5 offset:1536
	;; [unrolled: 1-line block ×16, first 2 shown]
	.loc	1 61 24                         ; persistent_matmul.py:61:24
	ds_store_b16 v157, v36 offset:16384
	ds_store_b16 v157, v35 offset:16896
	;; [unrolled: 1-line block ×32, first 2 shown]
	s_cbranch_scc1 .LBB0_393
; %bb.130:                              ; %.lr.ph
	.loc	1 0 24 is_stmt 0                ; persistent_matmul.py:0:24
	v_and_or_b32 v0, 0x870, v153, v152
	v_lshl_add_u32 v1, v151, 7, 0
	s_and_b32 s0, s15, 0x60
	v_writelane_b32 v240, s16, 8
	s_wait_alu depctr_sa_sdst(0)
	s_mov_b32 s25, ttmp9
	v_xor_b32_e32 v158, v0, v151
	v_add3_u32 v159, v1, v154, s0
	s_mov_b32 s17, 0
	v_writelane_b32 v240, s49, 9
	.loc	1 38 28 is_stmt 1               ; persistent_matmul.py:38:28
	s_add_co_i32 s49, ttmp9, 0xfffffed0
	v_xor_b32_e32 v0, 32, v158
	v_xor_b32_e32 v1, 64, v158
	v_mov_b32_e32 v56, 0
	v_xor_b32_e32 v2, 0x60, v158
	s_mov_b32 s52, 0
	v_writelane_b32 v240, s15, 10
	v_add_nc_u32_e32 v161, 0, v1
	v_dual_mov_b32 v57, v56 :: v_dual_mov_b32 v58, v56
	v_dual_mov_b32 v59, v56 :: v_dual_add_nc_u32 v160, 0, v0
	v_dual_mov_b32 v61, v56 :: v_dual_add_nc_u32 v162, 0, v2
	v_dual_mov_b32 v60, v56 :: v_dual_mov_b32 v63, v56
	v_dual_mov_b32 v62, v56 :: v_dual_mov_b32 v49, v56
	;; [unrolled: 1-line block ×29, first 2 shown]
	v_mov_b32_e32 v6, v56
	s_branch .LBB0_133
.LBB0_131:                              ; %Flow287
                                        ;   in Loop: Header=BB0_133 Depth=1
	.loc	1 0 28 is_stmt 0                ; persistent_matmul.py:0:28
	s_wait_alu depctr_sa_sdst(0)
	s_or_b32 exec_lo, exec_lo, s0
.LBB0_132:                              ;   in Loop: Header=BB0_133 Depth=1
	.loc	1 60 24 is_stmt 1               ; persistent_matmul.py:60:24
	s_wait_loadcnt 0x0
	s_wait_storecnt 0x0
	s_barrier_signal -1
	.loc	1 43 59                         ; persistent_matmul.py:43:59
	v_cndmask_b32_e64 v56, v56, 0, s54
	v_cndmask_b32_e64 v57, v57, 0, s54
	;; [unrolled: 1-line block ×64, first 2 shown]
	s_add_co_i32 s24, s24, -1
	.loc	1 60 24                         ; persistent_matmul.py:60:24
	s_barrier_wait -1
	.loc	1 43 59                         ; persistent_matmul.py:43:59
	s_cmp_lg_u32 s24, 0
	.loc	1 60 24                         ; persistent_matmul.py:60:24
	global_inv scope:SCOPE_SE
	ds_store_b16 v155, v164
	ds_store_b16 v155, v166 offset:1024
	ds_store_b16 v155, v168 offset:2048
	;; [unrolled: 1-line block ×31, first 2 shown]
	.loc	1 61 24                         ; persistent_matmul.py:61:24
	ds_store_b16 v157, v196 offset:16384
	ds_store_b16 v157, v195 offset:16896
	;; [unrolled: 1-line block ×32, first 2 shown]
	.loc	1 43 59                         ; persistent_matmul.py:43:59
	s_cbranch_scc0 .LBB0_392
.LBB0_133:                              ; =>This Inner Loop Header: Depth=1
	.loc	1 43 59                         ; persistent_matmul.py:43:59
	s_add_co_i32 s0, s61, 1
	s_cmp_eq_u32 s61, s42
	s_cselect_b32 s54, -1, 0
	s_wait_alu depctr_sa_sdst(0)
	s_and_b32 s1, s54, exec_lo
	s_cselect_b32 s61, 0, s0
	s_wait_alu depctr_sa_sdst(0)
	s_cmp_eq_u32 s61, 0
	s_cselect_b32 s0, -1, 0
	s_cmp_lg_u32 s61, 0
	s_cbranch_scc1 .LBB0_135
; %bb.134:                              ;   in Loop: Header=BB0_133 Depth=1
.Ltmp35:
	.loc	1 10 26                         ; persistent_matmul.py:10:26 @[ persistent_matmul.py:44:88 ]
	v_readlane_b32 s2, v241, 0
	v_readlane_b32 s3, v241, 1
.Ltmp36:
	.loc	1 43 59                         ; persistent_matmul.py:43:59
	s_addk_co_i32 s25, 0x130
.Ltmp37:
	.loc	1 10 26                         ; persistent_matmul.py:10:26 @[ persistent_matmul.py:44:88 ]
	v_readlane_b32 s4, v241, 2
	s_abs_i32 s16, s25
	s_ashr_i32 s1, s25, 31
	s_wait_alu depctr_sa_sdst(0)
	s_mul_u64 s[2:3], s[16:17], s[2:3]
.Ltmp38:
	.loc	1 47 28                         ; persistent_matmul.py:47:28
	v_readlane_b32 s9, v241, 12
.Ltmp39:
	.loc	1 10 26                         ; persistent_matmul.py:10:26 @[ persistent_matmul.py:44:88 ]
	s_wait_alu depctr_sa_sdst(0)
	s_mul_i32 s2, s3, s36
	s_xor_b32 s4, s1, s4
	s_wait_alu depctr_sa_sdst(0)
	s_sub_co_i32 s2, s16, s2
	s_add_co_i32 s5, s3, 1
	s_wait_alu depctr_sa_sdst(0)
	s_sub_co_i32 s6, s2, s36
	s_cmp_ge_u32 s2, s36
.Ltmp40:
	.loc	1 47 28                         ; persistent_matmul.py:47:28
	v_readlane_b32 s10, v241, 13
.Ltmp41:
	.loc	1 10 26                         ; persistent_matmul.py:10:26 @[ persistent_matmul.py:44:88 ]
	s_cselect_b32 s3, s5, s3
	s_wait_alu depctr_sa_sdst(0)
	s_cselect_b32 s2, s6, s2
	s_add_co_i32 s5, s3, 1
	s_wait_alu depctr_sa_sdst(0)
	s_cmp_ge_u32 s2, s36
.Ltmp42:
	.loc	1 47 28                         ; persistent_matmul.py:47:28
	v_readlane_b32 s11, v241, 14
.Ltmp43:
	.loc	1 10 26                         ; persistent_matmul.py:10:26 @[ persistent_matmul.py:44:88 ]
	s_cselect_b32 s2, s5, s3
.Ltmp44:
	.loc	1 47 28                         ; persistent_matmul.py:47:28
	v_readlane_b32 s12, v241, 15
.Ltmp45:
	.loc	1 10 26                         ; persistent_matmul.py:10:26 @[ persistent_matmul.py:44:88 ]
	s_wait_alu depctr_sa_sdst(0)
	s_xor_b32 s2, s2, s4
.Ltmp46:
	.loc	1 47 28                         ; persistent_matmul.py:47:28
	v_readlane_b32 s13, v241, 16
.Ltmp47:
	.loc	1 10 26                         ; persistent_matmul.py:10:26 @[ persistent_matmul.py:44:88 ]
	s_wait_alu depctr_sa_sdst(0)
	s_sub_co_i32 s2, s2, s4
.Ltmp48:
	.loc	1 47 28                         ; persistent_matmul.py:47:28
	v_readlane_b32 s14, v241, 17
.Ltmp49:
	.loc	1 11 29                         ; persistent_matmul.py:11:29 @[ persistent_matmul.py:44:88 ]
	s_wait_alu depctr_sa_sdst(0)
	s_lshl_b32 s3, s2, 3
	.loc	1 14 23                         ; persistent_matmul.py:14:23 @[ persistent_matmul.py:44:88 ]
	s_mul_i32 s2, s2, s35
	.loc	1 12 35                         ; persistent_matmul.py:12:35 @[ persistent_matmul.py:44:88 ]
	s_wait_alu depctr_sa_sdst(0)
	s_sub_co_i32 s4, s33, s3
.Ltmp50:
	.loc	1 47 28                         ; persistent_matmul.py:47:28
	v_readlane_b32 s15, v241, 18
.Ltmp51:
	.loc	1 12 48                         ; persistent_matmul.py:12:48 @[ persistent_matmul.py:44:88 ]
	s_wait_alu depctr_sa_sdst(0)
	s_min_i32 s4, s4, 8
.Ltmp52:
	.loc	1 47 28                         ; persistent_matmul.py:47:28
	v_readlane_b32 s39, v241, 20
.Ltmp53:
	.loc	1 13 37                         ; persistent_matmul.py:13:37 @[ persistent_matmul.py:44:88 ]
	s_wait_alu depctr_sa_sdst(0)
	s_abs_i32 s5, s4
.Ltmp54:
	.loc	1 47 28                         ; persistent_matmul.py:47:28
	v_readlane_b32 s45, v241, 21
.Ltmp55:
	.loc	1 13 37                         ; persistent_matmul.py:13:37 @[ persistent_matmul.py:44:88 ]
	s_wait_alu depctr_sa_sdst(0)
	s_cvt_f32_u32 s6, s5
	s_sub_co_i32 s7, 0, s5
.Ltmp56:
	.loc	1 47 28                         ; persistent_matmul.py:47:28
	v_readlane_b32 s47, v241, 22
	v_readlane_b32 s50, v241, 23
.Ltmp57:
	.loc	1 13 37                         ; persistent_matmul.py:13:37 @[ persistent_matmul.py:44:88 ]
	s_wait_alu depctr_sa_sdst(0)
	v_rcp_iflag_f32_e32 v64, s6
.Ltmp58:
	.loc	1 47 28                         ; persistent_matmul.py:47:28
	v_readlane_b32 s55, v241, 24
	v_readlane_b32 s56, v241, 25
	;; [unrolled: 1-line block ×9, first 2 shown]
.Ltmp59:
	.loc	1 13 37                         ; persistent_matmul.py:13:37 @[ persistent_matmul.py:44:88 ]
	v_readfirstlane_b32 s6, v64
.Ltmp60:
	.loc	1 47 28                         ; persistent_matmul.py:47:28
	v_readlane_b32 s73, v240, 1
	v_readlane_b32 s75, v240, 2
	;; [unrolled: 1-line block ×4, first 2 shown]
.Ltmp61:
	.loc	1 13 37                         ; persistent_matmul.py:13:37 @[ persistent_matmul.py:44:88 ]
	s_mul_f32 s6, s6, 0x4f7ffffe
.Ltmp62:
	.loc	1 47 28                         ; persistent_matmul.py:47:28
	v_readlane_b32 s81, v240, 5
	v_readlane_b32 s83, v240, 7
.Ltmp63:
	.loc	1 13 37                         ; persistent_matmul.py:13:37 @[ persistent_matmul.py:44:88 ]
	s_wait_alu depctr_sa_sdst(0)
	s_cvt_u32_f32 s6, s6
	s_wait_alu depctr_sa_sdst(0)
	s_delay_alu instid0(SALU_CYCLE_2)
	s_mul_i32 s7, s7, s6
	s_wait_alu depctr_sa_sdst(0)
	s_mul_hi_u32 s7, s6, s7
	s_wait_alu depctr_sa_sdst(0)
	s_add_co_i32 s6, s6, s7
	s_wait_alu depctr_sa_sdst(0)
	s_mul_hi_u32 s7, s16, s6
	s_wait_alu depctr_sa_sdst(0)
	s_mul_i32 s7, s7, s5
	s_wait_alu depctr_sa_sdst(0)
	s_sub_co_i32 s7, s16, s7
.Ltmp64:
	.loc	1 47 28                         ; persistent_matmul.py:47:28
	v_readlane_b32 s16, v241, 19
.Ltmp65:
	.loc	1 13 37                         ; persistent_matmul.py:13:37 @[ persistent_matmul.py:44:88 ]
	s_wait_alu depctr_sa_sdst(0)
	s_sub_co_i32 s8, s7, s5
	s_cmp_ge_u32 s7, s5
	s_wait_alu depctr_sa_sdst(0)
	s_cselect_b32 s7, s8, s7
	s_wait_alu depctr_sa_sdst(0)
	s_sub_co_i32 s8, s7, s5
	s_cmp_ge_u32 s7, s5
	s_wait_alu depctr_sa_sdst(0)
	s_cselect_b32 s7, s8, s7
	.loc	1 14 23                         ; persistent_matmul.py:14:23 @[ persistent_matmul.py:44:88 ]
	s_sub_co_i32 s2, s25, s2
	.loc	1 13 37                         ; persistent_matmul.py:13:37 @[ persistent_matmul.py:44:88 ]
	s_wait_alu depctr_sa_sdst(0)
	s_xor_b32 s7, s7, s1
	.loc	1 14 44                         ; persistent_matmul.py:14:44 @[ persistent_matmul.py:44:88 ]
	s_xor_b32 s4, s2, s4
	s_abs_i32 s2, s2
	.loc	1 13 37                         ; persistent_matmul.py:13:37 @[ persistent_matmul.py:44:88 ]
	s_wait_alu depctr_sa_sdst(0)
	s_sub_co_i32 s1, s7, s1
	.loc	1 14 44                         ; persistent_matmul.py:14:44 @[ persistent_matmul.py:44:88 ]
	s_mul_hi_u32 s6, s2, s6
	.loc	1 13 27                         ; persistent_matmul.py:13:27 @[ persistent_matmul.py:44:88 ]
	s_wait_alu depctr_sa_sdst(0)
	s_add_co_i32 s3, s3, s1
	.loc	1 14 44                         ; persistent_matmul.py:14:44 @[ persistent_matmul.py:44:88 ]
	s_mul_i32 s7, s6, s5
	s_ashr_i32 s4, s4, 31
	s_wait_alu depctr_sa_sdst(0)
	s_sub_co_i32 s1, s2, s7
	s_add_co_i32 s2, s6, 1
	s_wait_alu depctr_sa_sdst(0)
	s_sub_co_i32 s7, s1, s5
	s_cmp_ge_u32 s1, s5
.Ltmp66:
	.loc	1 47 28                         ; persistent_matmul.py:47:28
	v_readlane_b32 s8, v241, 10
.Ltmp67:
	.loc	1 14 44                         ; persistent_matmul.py:14:44 @[ persistent_matmul.py:44:88 ]
	s_cselect_b32 s2, s2, s6
	s_wait_alu depctr_sa_sdst(0)
	s_cselect_b32 s1, s7, s1
	s_add_co_i32 s6, s2, 1
	s_wait_alu depctr_sa_sdst(0)
	s_cmp_ge_u32 s1, s5
.Ltmp68:
	.loc	1 47 28                         ; persistent_matmul.py:47:28
	v_readlane_b32 s5, v241, 4
.Ltmp69:
	.loc	1 14 44                         ; persistent_matmul.py:14:44 @[ persistent_matmul.py:44:88 ]
	s_cselect_b32 s1, s6, s2
.Ltmp70:
	.loc	1 47 28                         ; persistent_matmul.py:47:28
	v_readlane_b32 s6, v241, 6
	v_readlane_b32 s7, v241, 8
	.loc	1 45 26                         ; persistent_matmul.py:45:26
	s_lshl_b32 s2, s3, 7
.Ltmp71:
	.loc	1 14 44                         ; persistent_matmul.py:14:44 @[ persistent_matmul.py:44:88 ]
	s_wait_alu depctr_sa_sdst(0)
	s_xor_b32 s1, s1, s4
.Ltmp72:
	.loc	1 47 28                         ; persistent_matmul.py:47:28
	s_or_b32 s3, s2, s41
	s_or_b32 s5, s2, s5
	;; [unrolled: 1-line block ×32, first 2 shown]
.Ltmp73:
	.loc	1 14 44                         ; persistent_matmul.py:14:44 @[ persistent_matmul.py:44:88 ]
	s_wait_alu depctr_sa_sdst(0)
	s_sub_co_i32 s1, s1, s4
.Ltmp74:
	.loc	1 49 37                         ; persistent_matmul.py:49:37
	s_cmp_lt_i32 s3, s22
	.loc	1 48 28                         ; persistent_matmul.py:48:28
	s_wait_alu depctr_sa_sdst(0)
	v_lshl_or_b32 v64, s1, 7, v150
	.loc	1 49 49                         ; persistent_matmul.py:49:49
	s_cselect_b32 s3, s3, 0
	.loc	1 49 37 is_stmt 0               ; persistent_matmul.py:49:37
	s_cmp_lt_i32 s5, s22
	.loc	1 57 49 is_stmt 1               ; persistent_matmul.py:57:49
	s_wait_alu depctr_sa_sdst(0)
	s_mul_i32 s3, s3, s26
	.loc	1 49 49                         ; persistent_matmul.py:49:49
	s_cselect_b32 s4, s5, 0
	.loc	1 49 37 is_stmt 0               ; persistent_matmul.py:49:37
	s_cmp_lt_i32 s6, s22
	.loc	1 49 49                         ; persistent_matmul.py:49:49
	s_wait_alu depctr_sa_sdst(0)
	v_writelane_b32 v241, s3, 3
	s_cselect_b32 s5, s6, 0
	.loc	1 49 37                         ; persistent_matmul.py:49:37
	s_cmp_lt_i32 s7, s22
	.loc	1 57 49 is_stmt 1               ; persistent_matmul.py:57:49
	s_mul_i32 s4, s4, s26
	.loc	1 49 49                         ; persistent_matmul.py:49:49
	s_cselect_b32 s6, s7, 0
	.loc	1 49 37 is_stmt 0               ; persistent_matmul.py:49:37
	s_cmp_lt_i32 s8, s22
	.loc	1 49 49                         ; persistent_matmul.py:49:49
	s_wait_alu depctr_sa_sdst(0)
	v_writelane_b32 v241, s4, 5
	s_cselect_b32 s7, s8, 0
	.loc	1 49 37                         ; persistent_matmul.py:49:37
	s_cmp_lt_i32 s9, s22
	.loc	1 57 49 is_stmt 1               ; persistent_matmul.py:57:49
	;; [unrolled: 12-line block ×4, first 2 shown]
	v_cmp_gt_i32_e32 vcc_lo, s23, v64
	.loc	1 49 49                         ; persistent_matmul.py:49:49
	s_cselect_b32 s12, s13, 0
	.loc	1 49 37 is_stmt 0               ; persistent_matmul.py:49:37
	s_cmp_lt_i32 s14, s22
	.loc	1 57 49 is_stmt 1               ; persistent_matmul.py:57:49
	s_mul_i32 s7, s7, s26
	.loc	1 49 49                         ; persistent_matmul.py:49:49
	s_cselect_b32 s13, s14, 0
	.loc	1 49 37 is_stmt 0               ; persistent_matmul.py:49:37
	s_cmp_lt_i32 s15, s22
	.loc	1 49 49                         ; persistent_matmul.py:49:49
	s_wait_alu depctr_sa_sdst(0)
	v_writelane_b32 v241, s7, 11
	s_cselect_b32 s14, s15, 0
	.loc	1 49 37                         ; persistent_matmul.py:49:37
	s_cmp_lt_i32 s16, s22
	.loc	1 50 49 is_stmt 1               ; persistent_matmul.py:50:49
	s_wait_alu depctr_va_vcc(0)
	v_cndmask_b32_e32 v64, 0, v64, vcc_lo
	.loc	1 49 49                         ; persistent_matmul.py:49:49
	s_cselect_b32 s15, s16, 0
	.loc	1 49 37 is_stmt 0               ; persistent_matmul.py:49:37
	s_cmp_lt_i32 s39, s22
	.loc	1 49 49                         ; persistent_matmul.py:49:49
	s_cselect_b32 s16, s39, 0
	.loc	1 49 37                         ; persistent_matmul.py:49:37
	s_cmp_lt_i32 s45, s22
	.loc	1 49 49                         ; persistent_matmul.py:49:49
	s_cselect_b32 s39, s45, 0
	.loc	1 49 37                         ; persistent_matmul.py:49:37
	;; [unrolled: 4-line block ×4, first 2 shown]
	s_cmp_lt_i32 s55, s22
	.loc	1 57 49 is_stmt 1               ; persistent_matmul.py:57:49
	s_wait_alu depctr_sa_sdst(0)
	s_mul_i32 s83, s47, s26
	.loc	1 49 49                         ; persistent_matmul.py:49:49
	s_cselect_b32 s50, s55, 0
	.loc	1 49 37 is_stmt 0               ; persistent_matmul.py:49:37
	s_cmp_lt_i32 s56, s22
	.loc	1 57 49 is_stmt 1               ; persistent_matmul.py:57:49
	s_wait_alu depctr_sa_sdst(0)
	s_mul_i32 s85, s50, s26
	.loc	1 49 49                         ; persistent_matmul.py:49:49
	s_cselect_b32 s55, s56, 0
	.loc	1 49 37 is_stmt 0               ; persistent_matmul.py:49:37
	s_cmp_lt_i32 s58, s22
	.loc	1 57 49 is_stmt 1               ; persistent_matmul.py:57:49
	s_wait_alu depctr_sa_sdst(0)
	s_mul_i32 s87, s55, s26
	.loc	1 49 49                         ; persistent_matmul.py:49:49
	s_cselect_b32 s56, s58, 0
	.loc	1 49 37 is_stmt 0               ; persistent_matmul.py:49:37
	s_cmp_lt_i32 s60, s22
	.loc	1 57 49 is_stmt 1               ; persistent_matmul.py:57:49
	s_wait_alu depctr_sa_sdst(0)
	s_mul_i32 s89, s56, s26
	.loc	1 49 49                         ; persistent_matmul.py:49:49
	s_cselect_b32 s1, s60, 0
	.loc	1 49 37 is_stmt 0               ; persistent_matmul.py:49:37
	s_cmp_lt_i32 s63, s22
	.loc	1 57 49 is_stmt 1               ; persistent_matmul.py:57:49
	s_wait_alu depctr_sa_sdst(0)
	s_mul_i32 s91, s1, s26
	.loc	1 49 49                         ; persistent_matmul.py:49:49
	s_cselect_b32 s3, s63, 0
	.loc	1 49 37 is_stmt 0               ; persistent_matmul.py:49:37
	s_cmp_lt_i32 s65, s22
	.loc	1 58 79 is_stmt 1               ; persistent_matmul.py:58:79
	v_readlane_b32 s1, v240, 6
	.loc	1 49 49                         ; persistent_matmul.py:49:49
	s_cselect_b32 s4, s65, 0
	.loc	1 49 37 is_stmt 0               ; persistent_matmul.py:49:37
	s_cmp_lt_i32 s67, s22
	.loc	1 57 49 is_stmt 1               ; persistent_matmul.py:57:49
	s_mul_i32 s60, s8, s26
	.loc	1 49 49                         ; persistent_matmul.py:49:49
	s_cselect_b32 s58, s67, 0
	.loc	1 49 37 is_stmt 0               ; persistent_matmul.py:49:37
	s_cmp_lt_i32 s69, s22
	.loc	1 57 49 is_stmt 1               ; persistent_matmul.py:57:49
	s_mul_i32 s63, s9, s26
	;; [unrolled: 6-line block ×3, first 2 shown]
	.loc	1 49 49                         ; persistent_matmul.py:49:49
	s_cselect_b32 s6, s71, 0
	.loc	1 49 37 is_stmt 0               ; persistent_matmul.py:49:37
	s_cmp_lt_i32 s73, s22
	.loc	1 58 79 is_stmt 1               ; persistent_matmul.py:58:79
	v_mul_lo_u32 v128, v64, s1
	.loc	1 49 49                         ; persistent_matmul.py:49:49
	s_cselect_b32 s7, s73, 0
	.loc	1 49 37 is_stmt 0               ; persistent_matmul.py:49:37
	s_cmp_lt_i32 s75, s22
	.loc	1 57 49 is_stmt 1               ; persistent_matmul.py:57:49
	s_mul_i32 s67, s11, s26
	.loc	1 49 49                         ; persistent_matmul.py:49:49
	s_cselect_b32 s8, s75, 0
	.loc	1 49 37 is_stmt 0               ; persistent_matmul.py:49:37
	s_cmp_lt_i32 s77, s22
	.loc	1 57 49 is_stmt 1               ; persistent_matmul.py:57:49
	s_mul_i32 s69, s12, s26
	;; [unrolled: 6-line block ×5, first 2 shown]
	.loc	1 49 49                         ; persistent_matmul.py:49:49
	s_cselect_b32 s2, s2, 0
	.loc	1 57 49                         ; persistent_matmul.py:57:49
	s_mul_i32 s77, s16, s26
	s_mul_i32 s79, s39, s26
	;; [unrolled: 1-line block ×3, first 2 shown]
	s_wait_alu depctr_sa_sdst(0)
	s_mul_i32 s93, s3, s26
	s_mul_i32 s95, s4, s26
	s_mul_i32 s98, s58, s26
	s_mul_i32 s99, s5, s26
	s_mul_i32 s102, s6, s26
	s_mul_i32 s104, s7, s26
	s_mul_i32 s39, s8, s26
	s_mul_i32 s45, s9, s26
	s_mul_i32 s47, s10, s26
	s_mul_i32 s50, s11, s26
	s_mul_i32 s55, s2, s26
.LBB0_135:                              ;   in Loop: Header=BB0_133 Depth=1
	.loc	1 43 59                         ; persistent_matmul.py:43:59
	s_add_co_i32 s1, s52, 1
	s_wait_alu depctr_sa_sdst(0)
	s_and_b32 s0, s0, exec_lo
	s_cselect_b32 s52, 0, s1
	v_dual_mov_b32 v163, 0 :: v_dual_mov_b32 v164, 0
	.loc	1 56 26                         ; persistent_matmul.py:56:26
	s_wait_alu depctr_sa_sdst(0)
	s_lshl_b32 s1, s52, 6
	.loc	1 56 41 is_stmt 0               ; persistent_matmul.py:56:41
	s_wait_alu depctr_sa_sdst(0)
	v_or_b32_e32 v64, s1, v149
	.loc	1 60 68 is_stmt 1               ; persistent_matmul.py:60:68
	s_sub_co_i32 s2, s40, s1
	.loc	1 60 64 is_stmt 0               ; persistent_matmul.py:60:64
	s_wait_alu depctr_sa_sdst(0)
	v_cmp_gt_i32_e32 vcc_lo, s2, v149
	s_delay_alu instid0(VALU_DEP_2)
	.loc	1 57 79 is_stmt 1               ; persistent_matmul.py:57:79
	v_mul_lo_u32 v64, v64, s27
	.loc	1 60 24                         ; persistent_matmul.py:60:24
	s_and_saveexec_b32 s3, vcc_lo
	s_cbranch_execz .LBB0_137
; %bb.136:                              ;   in Loop: Header=BB0_133 Depth=1
	.loc	1 0 24 is_stmt 0                ; persistent_matmul.py:0:24
	v_readlane_b32 s0, v241, 3
	s_wait_alu depctr_va_sdst(0)
	s_delay_alu instid0(VALU_DEP_1) | instskip(NEXT) | instid1(VALU_DEP_1)
	v_add_nc_u32_e32 v65, s0, v64
	v_ashrrev_i32_e32 v66, 31, v65
	s_delay_alu instid0(VALU_DEP_1) | instskip(NEXT) | instid1(VALU_DEP_1)
	v_lshlrev_b64_e32 v[65:66], 1, v[65:66]
	v_add_co_u32 v65, s0, s28, v65
	s_wait_alu depctr_va_sdst(0)
	s_delay_alu instid0(VALU_DEP_2)
	v_add_co_ci_u32_e64 v66, null, s29, v66, s0
	.loc	1 60 24                         ; persistent_matmul.py:60:24
	global_load_u16 v164, v[65:66], off
.LBB0_137:                              ;   in Loop: Header=BB0_133 Depth=1
	.loc	1 0 24                          ; persistent_matmul.py:0:24
	s_wait_alu depctr_sa_sdst(0)
	s_or_b32 exec_lo, exec_lo, s3
	.loc	1 60 24                         ; persistent_matmul.py:60:24
	s_and_saveexec_b32 s3, vcc_lo
	s_cbranch_execz .LBB0_139
; %bb.138:                              ;   in Loop: Header=BB0_133 Depth=1
	.loc	1 57 61 is_stmt 1               ; persistent_matmul.py:57:61
	v_readlane_b32 s0, v241, 5
	s_wait_alu depctr_va_sdst(0)
	s_delay_alu instid0(VALU_DEP_1) | instskip(NEXT) | instid1(VALU_DEP_1)
	v_add_nc_u32_e32 v65, s0, v64
	.loc	1 57 30 is_stmt 0               ; persistent_matmul.py:57:30
	v_ashrrev_i32_e32 v66, 31, v65
	s_delay_alu instid0(VALU_DEP_1) | instskip(NEXT) | instid1(VALU_DEP_1)
	v_lshlrev_b64_e32 v[65:66], 1, v[65:66]
	v_add_co_u32 v65, s0, s28, v65
	s_wait_alu depctr_va_sdst(0)
	s_delay_alu instid0(VALU_DEP_2)
	v_add_co_ci_u32_e64 v66, null, s29, v66, s0
	.loc	1 60 24 is_stmt 1               ; persistent_matmul.py:60:24
	global_load_u16 v163, v[65:66], off
.LBB0_139:                              ;   in Loop: Header=BB0_133 Depth=1
	.loc	1 0 24 is_stmt 0                ; persistent_matmul.py:0:24
	s_wait_alu depctr_sa_sdst(0)
	s_or_b32 exec_lo, exec_lo, s3
	v_dual_mov_b32 v165, 0 :: v_dual_mov_b32 v166, 0
	.loc	1 60 24                         ; persistent_matmul.py:60:24
	s_and_saveexec_b32 s3, vcc_lo
	s_cbranch_execz .LBB0_141
; %bb.140:                              ;   in Loop: Header=BB0_133 Depth=1
	.loc	1 57 61 is_stmt 1               ; persistent_matmul.py:57:61
	v_readlane_b32 s0, v241, 7
	s_wait_alu depctr_va_sdst(0)
	s_delay_alu instid0(VALU_DEP_1) | instskip(NEXT) | instid1(VALU_DEP_1)
	v_add_nc_u32_e32 v65, s0, v64
	.loc	1 57 30 is_stmt 0               ; persistent_matmul.py:57:30
	v_ashrrev_i32_e32 v66, 31, v65
	s_delay_alu instid0(VALU_DEP_1) | instskip(NEXT) | instid1(VALU_DEP_1)
	v_lshlrev_b64_e32 v[65:66], 1, v[65:66]
	v_add_co_u32 v65, s0, s28, v65
	s_wait_alu depctr_va_sdst(0)
	s_delay_alu instid0(VALU_DEP_2)
	v_add_co_ci_u32_e64 v66, null, s29, v66, s0
	.loc	1 60 24 is_stmt 1               ; persistent_matmul.py:60:24
	global_load_u16 v166, v[65:66], off
.LBB0_141:                              ;   in Loop: Header=BB0_133 Depth=1
	.loc	1 0 24 is_stmt 0                ; persistent_matmul.py:0:24
	s_wait_alu depctr_sa_sdst(0)
	s_or_b32 exec_lo, exec_lo, s3
	.loc	1 60 24                         ; persistent_matmul.py:60:24
	s_and_saveexec_b32 s3, vcc_lo
	s_cbranch_execz .LBB0_143
; %bb.142:                              ;   in Loop: Header=BB0_133 Depth=1
	.loc	1 57 61 is_stmt 1               ; persistent_matmul.py:57:61
	v_readlane_b32 s0, v241, 9
	s_wait_alu depctr_va_sdst(0)
	s_delay_alu instid0(VALU_DEP_1) | instskip(NEXT) | instid1(VALU_DEP_1)
	v_add_nc_u32_e32 v65, s0, v64
	.loc	1 57 30 is_stmt 0               ; persistent_matmul.py:57:30
	v_ashrrev_i32_e32 v66, 31, v65
	s_delay_alu instid0(VALU_DEP_1) | instskip(NEXT) | instid1(VALU_DEP_1)
	v_lshlrev_b64_e32 v[65:66], 1, v[65:66]
	v_add_co_u32 v65, s0, s28, v65
	s_wait_alu depctr_va_sdst(0)
	s_delay_alu instid0(VALU_DEP_2)
	v_add_co_ci_u32_e64 v66, null, s29, v66, s0
	.loc	1 60 24 is_stmt 1               ; persistent_matmul.py:60:24
	global_load_u16 v165, v[65:66], off
.LBB0_143:                              ;   in Loop: Header=BB0_133 Depth=1
	.loc	1 0 24 is_stmt 0                ; persistent_matmul.py:0:24
	s_wait_alu depctr_sa_sdst(0)
	s_or_b32 exec_lo, exec_lo, s3
	v_dual_mov_b32 v167, 0 :: v_dual_mov_b32 v168, 0
	.loc	1 60 24                         ; persistent_matmul.py:60:24
	s_and_saveexec_b32 s3, vcc_lo
	s_cbranch_execz .LBB0_145
; %bb.144:                              ;   in Loop: Header=BB0_133 Depth=1
	.loc	1 57 61 is_stmt 1               ; persistent_matmul.py:57:61
	v_readlane_b32 s0, v241, 11
	s_wait_alu depctr_va_sdst(0)
	s_delay_alu instid0(VALU_DEP_1) | instskip(NEXT) | instid1(VALU_DEP_1)
	v_add_nc_u32_e32 v65, s0, v64
	.loc	1 57 30 is_stmt 0               ; persistent_matmul.py:57:30
	v_ashrrev_i32_e32 v66, 31, v65
	s_delay_alu instid0(VALU_DEP_1) | instskip(NEXT) | instid1(VALU_DEP_1)
	v_lshlrev_b64_e32 v[65:66], 1, v[65:66]
	v_add_co_u32 v65, s0, s28, v65
	s_wait_alu depctr_va_sdst(0)
	s_delay_alu instid0(VALU_DEP_2)
	v_add_co_ci_u32_e64 v66, null, s29, v66, s0
	.loc	1 60 24 is_stmt 1               ; persistent_matmul.py:60:24
	global_load_u16 v168, v[65:66], off
.LBB0_145:                              ;   in Loop: Header=BB0_133 Depth=1
	.loc	1 0 24 is_stmt 0                ; persistent_matmul.py:0:24
	s_wait_alu depctr_sa_sdst(0)
	s_or_b32 exec_lo, exec_lo, s3
	.loc	1 60 24                         ; persistent_matmul.py:60:24
	s_and_saveexec_b32 s3, vcc_lo
	s_cbranch_execz .LBB0_147
; %bb.146:                              ;   in Loop: Header=BB0_133 Depth=1
	.loc	1 57 61 is_stmt 1               ; persistent_matmul.py:57:61
	v_add_nc_u32_e32 v65, s60, v64
	s_delay_alu instid0(VALU_DEP_1) | instskip(NEXT) | instid1(VALU_DEP_1)
	.loc	1 57 30 is_stmt 0               ; persistent_matmul.py:57:30
	v_ashrrev_i32_e32 v66, 31, v65
	v_lshlrev_b64_e32 v[65:66], 1, v[65:66]
	s_delay_alu instid0(VALU_DEP_1) | instskip(SKIP_1) | instid1(VALU_DEP_2)
	v_add_co_u32 v65, s0, s28, v65
	s_wait_alu depctr_va_sdst(0)
	v_add_co_ci_u32_e64 v66, null, s29, v66, s0
	.loc	1 60 24 is_stmt 1               ; persistent_matmul.py:60:24
	global_load_u16 v167, v[65:66], off
.LBB0_147:                              ;   in Loop: Header=BB0_133 Depth=1
	.loc	1 0 24 is_stmt 0                ; persistent_matmul.py:0:24
	s_wait_alu depctr_sa_sdst(0)
	s_or_b32 exec_lo, exec_lo, s3
	v_dual_mov_b32 v169, 0 :: v_dual_mov_b32 v170, 0
	.loc	1 60 24                         ; persistent_matmul.py:60:24
	s_and_saveexec_b32 s3, vcc_lo
	s_cbranch_execz .LBB0_149
; %bb.148:                              ;   in Loop: Header=BB0_133 Depth=1
	.loc	1 57 61 is_stmt 1               ; persistent_matmul.py:57:61
	v_add_nc_u32_e32 v65, s63, v64
	s_delay_alu instid0(VALU_DEP_1) | instskip(NEXT) | instid1(VALU_DEP_1)
	.loc	1 57 30 is_stmt 0               ; persistent_matmul.py:57:30
	v_ashrrev_i32_e32 v66, 31, v65
	v_lshlrev_b64_e32 v[65:66], 1, v[65:66]
	s_delay_alu instid0(VALU_DEP_1) | instskip(SKIP_1) | instid1(VALU_DEP_2)
	v_add_co_u32 v65, s0, s28, v65
	s_wait_alu depctr_va_sdst(0)
	v_add_co_ci_u32_e64 v66, null, s29, v66, s0
	.loc	1 60 24 is_stmt 1               ; persistent_matmul.py:60:24
	global_load_u16 v170, v[65:66], off
.LBB0_149:                              ;   in Loop: Header=BB0_133 Depth=1
	.loc	1 0 24 is_stmt 0                ; persistent_matmul.py:0:24
	s_wait_alu depctr_sa_sdst(0)
	s_or_b32 exec_lo, exec_lo, s3
	.loc	1 60 24                         ; persistent_matmul.py:60:24
	s_and_saveexec_b32 s3, vcc_lo
	s_cbranch_execz .LBB0_151
; %bb.150:                              ;   in Loop: Header=BB0_133 Depth=1
	.loc	1 57 61 is_stmt 1               ; persistent_matmul.py:57:61
	v_add_nc_u32_e32 v65, s65, v64
	s_delay_alu instid0(VALU_DEP_1) | instskip(NEXT) | instid1(VALU_DEP_1)
	.loc	1 57 30 is_stmt 0               ; persistent_matmul.py:57:30
	v_ashrrev_i32_e32 v66, 31, v65
	v_lshlrev_b64_e32 v[65:66], 1, v[65:66]
	s_delay_alu instid0(VALU_DEP_1) | instskip(SKIP_1) | instid1(VALU_DEP_2)
	v_add_co_u32 v65, s0, s28, v65
	s_wait_alu depctr_va_sdst(0)
	v_add_co_ci_u32_e64 v66, null, s29, v66, s0
	.loc	1 60 24 is_stmt 1               ; persistent_matmul.py:60:24
	global_load_u16 v169, v[65:66], off
.LBB0_151:                              ;   in Loop: Header=BB0_133 Depth=1
	.loc	1 0 24 is_stmt 0                ; persistent_matmul.py:0:24
	s_wait_alu depctr_sa_sdst(0)
	s_or_b32 exec_lo, exec_lo, s3
	v_dual_mov_b32 v171, 0 :: v_dual_mov_b32 v172, 0
	.loc	1 60 24                         ; persistent_matmul.py:60:24
	s_and_saveexec_b32 s3, vcc_lo
	s_cbranch_execz .LBB0_153
; %bb.152:                              ;   in Loop: Header=BB0_133 Depth=1
	.loc	1 57 61 is_stmt 1               ; persistent_matmul.py:57:61
	v_add_nc_u32_e32 v65, s67, v64
	s_delay_alu instid0(VALU_DEP_1) | instskip(NEXT) | instid1(VALU_DEP_1)
	.loc	1 57 30 is_stmt 0               ; persistent_matmul.py:57:30
	v_ashrrev_i32_e32 v66, 31, v65
	v_lshlrev_b64_e32 v[65:66], 1, v[65:66]
	s_delay_alu instid0(VALU_DEP_1) | instskip(SKIP_1) | instid1(VALU_DEP_2)
	v_add_co_u32 v65, s0, s28, v65
	s_wait_alu depctr_va_sdst(0)
	v_add_co_ci_u32_e64 v66, null, s29, v66, s0
	.loc	1 60 24 is_stmt 1               ; persistent_matmul.py:60:24
	global_load_u16 v172, v[65:66], off
.LBB0_153:                              ;   in Loop: Header=BB0_133 Depth=1
	;; [unrolled: 41-line block ×13, first 2 shown]
	.loc	1 0 24 is_stmt 0                ; persistent_matmul.py:0:24
	s_wait_alu depctr_sa_sdst(0)
	s_or_b32 exec_lo, exec_lo, s3
	.loc	1 60 24                         ; persistent_matmul.py:60:24
	s_and_saveexec_b32 s0, vcc_lo
	s_cbranch_execz .LBB0_199
; %bb.198:                              ;   in Loop: Header=BB0_133 Depth=1
	.loc	1 57 61 is_stmt 1               ; persistent_matmul.py:57:61
	v_add_nc_u32_e32 v64, s55, v64
	s_delay_alu instid0(VALU_DEP_1) | instskip(NEXT) | instid1(VALU_DEP_1)
	.loc	1 57 30 is_stmt 0               ; persistent_matmul.py:57:30
	v_ashrrev_i32_e32 v65, 31, v64
	v_lshlrev_b64_e32 v[64:65], 1, v[64:65]
	s_delay_alu instid0(VALU_DEP_1) | instskip(SKIP_1) | instid1(VALU_DEP_2)
	v_add_co_u32 v64, vcc_lo, s28, v64
	s_wait_alu depctr_va_vcc(0)
	v_add_co_ci_u32_e64 v65, null, s29, v65, vcc_lo
	.loc	1 60 24 is_stmt 1               ; persistent_matmul.py:60:24
	global_load_u16 v193, v[64:65], off
.LBB0_199:                              ;   in Loop: Header=BB0_133 Depth=1
	.loc	1 0 24 is_stmt 0                ; persistent_matmul.py:0:24
	s_wait_alu depctr_sa_sdst(0)
	s_or_b32 exec_lo, exec_lo, s0
	.loc	1 60 24                         ; persistent_matmul.py:60:24
	s_wait_loadcnt_dscnt 0x0
	s_barrier_signal -1
	v_dual_mov_b32 v195, 0 :: v_dual_add_nc_u32 v64, 0, v158
	v_mov_b32_e32 v196, 0
	.loc	1 61 64 is_stmt 1               ; persistent_matmul.py:61:64
	s_cmp_ge_i32 s101, s2
	.loc	1 60 24                         ; persistent_matmul.py:60:24
	s_barrier_wait -1
	global_inv scope:SCOPE_SE
	ds_load_b128 v[112:115], v64
	ds_load_b128 v[116:119], v64 offset:4096
	ds_load_b128 v[120:123], v64 offset:8192
	ds_load_b128 v[124:127], v64 offset:12288
	ds_load_b128 v[96:99], v160
	ds_load_b128 v[100:103], v160 offset:4096
	ds_load_b128 v[104:107], v160 offset:8192
	ds_load_b128 v[108:111], v160 offset:12288
	;; [unrolled: 4-line block ×4, first 2 shown]
	.loc	1 61 24                         ; persistent_matmul.py:61:24
	s_cbranch_scc0 .LBB0_315
; %bb.200:                              ;   in Loop: Header=BB0_133 Depth=1
	.loc	1 61 64 is_stmt 0               ; persistent_matmul.py:61:64
	s_cmp_ge_i32 s103, s2
	.loc	1 61 24                         ; persistent_matmul.py:61:24
	s_cbranch_scc0 .LBB0_316
.LBB0_201:                              ;   in Loop: Header=BB0_133 Depth=1
	.loc	1 0 24                          ; persistent_matmul.py:0:24
	v_dual_mov_b32 v197, 0 :: v_dual_mov_b32 v198, 0
	.loc	1 61 64                         ; persistent_matmul.py:61:64
	s_cmp_ge_i32 vcc_hi, s2
	.loc	1 61 24                         ; persistent_matmul.py:61:24
	s_cbranch_scc0 .LBB0_317
.LBB0_202:                              ;   in Loop: Header=BB0_133 Depth=1
	.loc	1 61 64                         ; persistent_matmul.py:61:64
	s_cmp_ge_i32 s38, s2
	.loc	1 61 24                         ; persistent_matmul.py:61:24
	s_cbranch_scc0 .LBB0_318
.LBB0_203:                              ;   in Loop: Header=BB0_133 Depth=1
	.loc	1 0 24                          ; persistent_matmul.py:0:24
	v_dual_mov_b32 v199, 0 :: v_dual_mov_b32 v200, 0
	.loc	1 61 64                         ; persistent_matmul.py:61:64
	s_cmp_ge_i32 s43, s2
	.loc	1 61 24                         ; persistent_matmul.py:61:24
	s_cbranch_scc0 .LBB0_319
.LBB0_204:                              ;   in Loop: Header=BB0_133 Depth=1
	.loc	1 61 64                         ; persistent_matmul.py:61:64
	s_cmp_ge_i32 s46, s2
	.loc	1 61 24                         ; persistent_matmul.py:61:24
	s_cbranch_scc0 .LBB0_320
.LBB0_205:                              ;   in Loop: Header=BB0_133 Depth=1
	.loc	1 0 24                          ; persistent_matmul.py:0:24
	v_dual_mov_b32 v201, 0 :: v_dual_mov_b32 v202, 0
	.loc	1 61 64                         ; persistent_matmul.py:61:64
	s_cmp_ge_i32 s48, s2
	.loc	1 61 24                         ; persistent_matmul.py:61:24
	s_cbranch_scc0 .LBB0_321
.LBB0_206:                              ;   in Loop: Header=BB0_133 Depth=1
	.loc	1 61 64                         ; persistent_matmul.py:61:64
	s_cmp_ge_i32 s51, s2
	.loc	1 61 24                         ; persistent_matmul.py:61:24
	s_cbranch_scc0 .LBB0_322
.LBB0_207:                              ;   in Loop: Header=BB0_133 Depth=1
	.loc	1 0 24                          ; persistent_matmul.py:0:24
	v_dual_mov_b32 v203, 0 :: v_dual_mov_b32 v204, 0
	.loc	1 61 64                         ; persistent_matmul.py:61:64
	s_cmp_ge_i32 s53, s2
	.loc	1 61 24                         ; persistent_matmul.py:61:24
	s_cbranch_scc0 .LBB0_323
.LBB0_208:                              ;   in Loop: Header=BB0_133 Depth=1
	.loc	1 61 64                         ; persistent_matmul.py:61:64
	s_cmp_ge_i32 s57, s2
	.loc	1 61 24                         ; persistent_matmul.py:61:24
	s_cbranch_scc0 .LBB0_324
.LBB0_209:                              ;   in Loop: Header=BB0_133 Depth=1
	.loc	1 0 24                          ; persistent_matmul.py:0:24
	v_dual_mov_b32 v205, 0 :: v_dual_mov_b32 v206, 0
	.loc	1 61 64                         ; persistent_matmul.py:61:64
	s_cmp_ge_i32 s59, s2
	.loc	1 61 24                         ; persistent_matmul.py:61:24
	s_cbranch_scc0 .LBB0_325
.LBB0_210:                              ;   in Loop: Header=BB0_133 Depth=1
	.loc	1 61 64                         ; persistent_matmul.py:61:64
	s_cmp_ge_i32 s62, s2
	.loc	1 61 24                         ; persistent_matmul.py:61:24
	s_cbranch_scc0 .LBB0_326
.LBB0_211:                              ;   in Loop: Header=BB0_133 Depth=1
	.loc	1 0 24                          ; persistent_matmul.py:0:24
	v_dual_mov_b32 v207, 0 :: v_dual_mov_b32 v208, 0
	.loc	1 61 64                         ; persistent_matmul.py:61:64
	s_cmp_ge_i32 s64, s2
	.loc	1 61 24                         ; persistent_matmul.py:61:24
	s_cbranch_scc0 .LBB0_327
.LBB0_212:                              ;   in Loop: Header=BB0_133 Depth=1
	.loc	1 61 64                         ; persistent_matmul.py:61:64
	s_cmp_ge_i32 s66, s2
	.loc	1 61 24                         ; persistent_matmul.py:61:24
	s_cbranch_scc0 .LBB0_328
.LBB0_213:                              ;   in Loop: Header=BB0_133 Depth=1
	.loc	1 0 24                          ; persistent_matmul.py:0:24
	v_dual_mov_b32 v209, 0 :: v_dual_mov_b32 v210, 0
	.loc	1 61 64                         ; persistent_matmul.py:61:64
	s_cmp_ge_i32 s68, s2
	.loc	1 61 24                         ; persistent_matmul.py:61:24
	s_cbranch_scc0 .LBB0_329
.LBB0_214:                              ;   in Loop: Header=BB0_133 Depth=1
	.loc	1 61 64                         ; persistent_matmul.py:61:64
	s_cmp_ge_i32 s70, s2
	.loc	1 61 24                         ; persistent_matmul.py:61:24
	s_cbranch_scc0 .LBB0_330
.LBB0_215:                              ;   in Loop: Header=BB0_133 Depth=1
	.loc	1 0 24                          ; persistent_matmul.py:0:24
	v_dual_mov_b32 v211, 0 :: v_dual_mov_b32 v212, 0
	.loc	1 61 64                         ; persistent_matmul.py:61:64
	s_cmp_ge_i32 s72, s2
	.loc	1 61 24                         ; persistent_matmul.py:61:24
	s_cbranch_scc0 .LBB0_331
.LBB0_216:                              ;   in Loop: Header=BB0_133 Depth=1
	.loc	1 61 64                         ; persistent_matmul.py:61:64
	s_cmp_ge_i32 s74, s2
	.loc	1 61 24                         ; persistent_matmul.py:61:24
	s_cbranch_scc0 .LBB0_332
.LBB0_217:                              ;   in Loop: Header=BB0_133 Depth=1
	.loc	1 0 24                          ; persistent_matmul.py:0:24
	v_dual_mov_b32 v213, 0 :: v_dual_mov_b32 v214, 0
	.loc	1 61 64                         ; persistent_matmul.py:61:64
	s_cmp_ge_i32 s76, s2
	.loc	1 61 24                         ; persistent_matmul.py:61:24
	s_cbranch_scc0 .LBB0_333
.LBB0_218:                              ;   in Loop: Header=BB0_133 Depth=1
	.loc	1 61 64                         ; persistent_matmul.py:61:64
	s_cmp_ge_i32 s78, s2
	.loc	1 61 24                         ; persistent_matmul.py:61:24
	s_cbranch_scc0 .LBB0_334
.LBB0_219:                              ;   in Loop: Header=BB0_133 Depth=1
	.loc	1 0 24                          ; persistent_matmul.py:0:24
	v_dual_mov_b32 v215, 0 :: v_dual_mov_b32 v216, 0
	.loc	1 61 64                         ; persistent_matmul.py:61:64
	s_cmp_ge_i32 s80, s2
	.loc	1 61 24                         ; persistent_matmul.py:61:24
	s_cbranch_scc0 .LBB0_335
.LBB0_220:                              ;   in Loop: Header=BB0_133 Depth=1
	.loc	1 61 64                         ; persistent_matmul.py:61:64
	s_cmp_ge_i32 s82, s2
	.loc	1 61 24                         ; persistent_matmul.py:61:24
	s_cbranch_scc0 .LBB0_336
.LBB0_221:                              ;   in Loop: Header=BB0_133 Depth=1
	.loc	1 0 24                          ; persistent_matmul.py:0:24
	v_dual_mov_b32 v217, 0 :: v_dual_mov_b32 v218, 0
	.loc	1 61 64                         ; persistent_matmul.py:61:64
	s_cmp_ge_i32 s84, s2
	.loc	1 61 24                         ; persistent_matmul.py:61:24
	s_cbranch_scc0 .LBB0_337
.LBB0_222:                              ;   in Loop: Header=BB0_133 Depth=1
	.loc	1 61 64                         ; persistent_matmul.py:61:64
	s_cmp_ge_i32 s86, s2
	.loc	1 61 24                         ; persistent_matmul.py:61:24
	s_cbranch_scc0 .LBB0_338
.LBB0_223:                              ;   in Loop: Header=BB0_133 Depth=1
	.loc	1 0 24                          ; persistent_matmul.py:0:24
	v_dual_mov_b32 v219, 0 :: v_dual_mov_b32 v220, 0
	.loc	1 61 64                         ; persistent_matmul.py:61:64
	s_cmp_ge_i32 s88, s2
	.loc	1 61 24                         ; persistent_matmul.py:61:24
	s_cbranch_scc0 .LBB0_339
.LBB0_224:                              ;   in Loop: Header=BB0_133 Depth=1
	.loc	1 61 64                         ; persistent_matmul.py:61:64
	s_cmp_ge_i32 s90, s2
	.loc	1 61 24                         ; persistent_matmul.py:61:24
	s_cbranch_scc0 .LBB0_340
.LBB0_225:                              ;   in Loop: Header=BB0_133 Depth=1
	.loc	1 0 24                          ; persistent_matmul.py:0:24
	v_dual_mov_b32 v221, 0 :: v_dual_mov_b32 v222, 0
	.loc	1 61 64                         ; persistent_matmul.py:61:64
	s_cmp_ge_i32 s92, s2
	.loc	1 61 24                         ; persistent_matmul.py:61:24
	s_cbranch_scc0 .LBB0_341
.LBB0_226:                              ;   in Loop: Header=BB0_133 Depth=1
	.loc	1 61 64                         ; persistent_matmul.py:61:64
	s_cmp_ge_i32 s94, s2
	.loc	1 61 24                         ; persistent_matmul.py:61:24
	s_cbranch_scc0 .LBB0_342
.LBB0_227:                              ;   in Loop: Header=BB0_133 Depth=1
	.loc	1 0 24                          ; persistent_matmul.py:0:24
	v_dual_mov_b32 v223, 0 :: v_dual_mov_b32 v224, 0
	.loc	1 61 64                         ; persistent_matmul.py:61:64
	s_cmp_ge_i32 s96, s2
	.loc	1 61 24                         ; persistent_matmul.py:61:24
	s_cbranch_scc0 .LBB0_343
.LBB0_228:                              ;   in Loop: Header=BB0_133 Depth=1
	.loc	1 61 64                         ; persistent_matmul.py:61:64
	s_cmp_ge_i32 s97, s2
	.loc	1 61 24                         ; persistent_matmul.py:61:24
	s_cbranch_scc0 .LBB0_344
.LBB0_229:                              ;   in Loop: Header=BB0_133 Depth=1
	.loc	1 0 24                          ; persistent_matmul.py:0:24
	v_dual_mov_b32 v225, 0 :: v_dual_mov_b32 v226, 0
	.loc	1 61 64                         ; persistent_matmul.py:61:64
	s_cmp_ge_i32 s34, s2
	.loc	1 61 24                         ; persistent_matmul.py:61:24
	s_cbranch_scc0 .LBB0_345
.LBB0_230:                              ;   in Loop: Header=BB0_133 Depth=1
	.loc	1 61 64                         ; persistent_matmul.py:61:64
	s_cmp_ge_i32 s37, s2
	.loc	1 61 24                         ; persistent_matmul.py:61:24
	s_cbranch_scc1 .LBB0_232
.LBB0_231:                              ;   in Loop: Header=BB0_133 Depth=1
	.loc	1 56 41 is_stmt 1               ; persistent_matmul.py:56:41
	s_or_b32 s0, s1, s37
	.loc	1 58 60                         ; persistent_matmul.py:58:60
	s_wait_kmcnt 0x0
	s_wait_alu depctr_sa_sdst(0)
	v_mad_co_u64_u32 v[227:228], null, s0, s100, v[128:129]
	s_delay_alu instid0(VALU_DEP_1) | instskip(NEXT) | instid1(VALU_DEP_1)
	.loc	1 58 30 is_stmt 0               ; persistent_matmul.py:58:30
	v_ashrrev_i32_e32 v228, 31, v227
	v_lshlrev_b64_e32 v[227:228], 1, v[227:228]
	s_delay_alu instid0(VALU_DEP_1) | instskip(SKIP_1) | instid1(VALU_DEP_2)
	v_add_co_u32 v227, vcc_lo, s30, v227
	s_wait_alu depctr_va_vcc(0)
	v_add_co_ci_u32_e64 v228, null, s31, v228, vcc_lo
	.loc	1 61 24 is_stmt 1               ; persistent_matmul.py:61:24
	global_load_u16 v225, v[227:228], off
.LBB0_232:                              ;   in Loop: Header=BB0_133 Depth=1
	ds_load_u16 v228, v159 offset:16896
	ds_load_u16 v227, v159 offset:16384
	;; [unrolled: 1-line block ×5, first 2 shown]
	.loc	1 43 59                         ; persistent_matmul.py:43:59
	s_and_not1_b32 vcc_lo, exec_lo, s54
	.loc	1 61 24                         ; persistent_matmul.py:61:24
	s_wait_dscnt 0x0
	ds_load_u16_d16_hi v231, v159 offset:20864
	ds_load_u16 v235, v159 offset:20480
	ds_load_u16 v236, v159 offset:16512
	;; [unrolled: 1-line block ×5, first 2 shown]
	ds_load_u16_d16_hi v228, v159 offset:17152
	ds_load_u16_d16_hi v227, v159 offset:16640
	s_wait_dscnt 0x5
	ds_load_u16_d16_hi v236, v159 offset:16768
	ds_load_u16_d16_hi v229, v159 offset:17664
	;; [unrolled: 1-line block ×3, first 2 shown]
	s_wait_dscnt 0x7
	ds_load_u16_d16_hi v239, v159 offset:18304
	ds_load_u16_d16_hi v235, v159 offset:20736
	ds_load_u16 v232, v159 offset:21120
	s_wait_dscnt 0x9
	ds_load_u16_d16_hi v238, v159 offset:17792
	s_wait_dscnt 0x9
	ds_load_u16_d16_hi v237, v159 offset:17280
	.loc	1 62 39                         ; persistent_matmul.py:62:39
	s_wait_dscnt 0x5
	v_wmma_f32_16x16x16_f16 v[56:63], v[227:230], v[112:115], v[56:63]
	v_wmma_f32_16x16x16_f16 v[40:47], v[227:230], v[116:119], v[40:47]
	v_wmma_f32_16x16x16_f16 v[24:31], v[227:230], v[120:123], v[24:31]
	v_wmma_f32_16x16x16_f16 v[8:15], v[227:230], v[124:127], v[8:15]
	s_wait_dscnt 0x0
	v_wmma_f32_16x16x16_f16 v[48:55], v[236:239], v[112:115], v[48:55]
	v_wmma_f32_16x16x16_f16 v[32:39], v[236:239], v[116:119], v[32:39]
	;; [unrolled: 1-line block ×4, first 2 shown]
	.loc	1 61 24                         ; persistent_matmul.py:61:24
	ds_load_u16 v236, v159 offset:20992
	ds_load_u16 v237, v159 offset:21504
	s_wait_dscnt 0x1
	ds_load_u16_d16_hi v236, v159 offset:21248
	ds_load_u16 v238, v159 offset:22016
	ds_load_u16 v112, v159 offset:28672
	;; [unrolled: 1-line block ×7, first 2 shown]
	s_wait_dscnt 0x4
	ds_load_u16_d16_hi v115, v159 offset:25984
	ds_load_u16_d16_hi v237, v159 offset:21760
	ds_load_u16_d16_hi v238, v159 offset:22272
	ds_load_u16 v233, v159 offset:21632
	ds_load_u16 v113, v159 offset:24704
	;; [unrolled: 1-line block ×4, first 2 shown]
	s_wait_dscnt 0x8
	ds_load_u16_d16_hi v118, v159 offset:25344
	s_wait_dscnt 0x8
	ds_load_u16_d16_hi v119, v159 offset:25856
	ds_load_u16_d16_hi v232, v159 offset:21376
	s_wait_dscnt 0x6
	ds_load_u16_d16_hi v233, v159 offset:21888
	s_wait_dscnt 0x5
	ds_load_u16_d16_hi v234, v159 offset:22400
	ds_load_u16 v116, v159 offset:26240
	ds_load_u16_d16_hi v114, v159 offset:25472
	ds_load_u16_d16_hi v117, v159 offset:24832
	ds_load_u16_d16_hi v113, v159 offset:24960
	.loc	1 62 39                         ; persistent_matmul.py:62:39
	v_wmma_f32_16x16x16_f16 v[56:63], v[235:238], v[96:99], v[56:63]
	.loc	1 61 24                         ; persistent_matmul.py:61:24
	s_wait_dscnt 0x9
	ds_load_u16_d16_hi v120, v159 offset:26368
	.loc	1 62 39                         ; persistent_matmul.py:62:39
	v_wmma_f32_16x16x16_f16 v[40:47], v[235:238], v[100:103], v[40:47]
	v_wmma_f32_16x16x16_f16 v[24:31], v[235:238], v[104:107], v[24:31]
	;; [unrolled: 1-line block ×3, first 2 shown]
	s_wait_dscnt 0x5
	v_wmma_f32_16x16x16_f16 v[48:55], v[231:234], v[96:99], v[48:55]
	.loc	1 61 24                         ; persistent_matmul.py:61:24
	s_wait_dscnt 0x4
	ds_load_u16_d16_hi v116, v159 offset:26496
	ds_load_u16 v96, v159 offset:28800
	.loc	1 62 39                         ; persistent_matmul.py:62:39
	v_wmma_f32_16x16x16_f16 v[32:39], v[231:234], v[100:103], v[32:39]
	v_wmma_f32_16x16x16_f16 v[16:23], v[231:234], v[104:107], v[16:23]
	v_wmma_f32_16x16x16_f16 v[0:7], v[231:234], v[108:111], v[0:7]
	s_wait_dscnt 0x2
	v_wmma_f32_16x16x16_f16 v[56:63], v[117:120], v[80:83], v[56:63]
	v_wmma_f32_16x16x16_f16 v[40:47], v[117:120], v[84:87], v[40:47]
	;; [unrolled: 1-line block ×4, first 2 shown]
	s_wait_dscnt 0x1
	v_wmma_f32_16x16x16_f16 v[48:55], v[113:116], v[80:83], v[48:55]
	v_wmma_f32_16x16x16_f16 v[32:39], v[113:116], v[84:87], v[32:39]
	;; [unrolled: 1-line block ×4, first 2 shown]
	.loc	1 61 24                         ; persistent_matmul.py:61:24
	ds_load_u16 v114, v159 offset:29696
	ds_load_u16 v115, v159 offset:30208
	;; [unrolled: 1-line block ×6, first 2 shown]
	ds_load_u16_d16_hi v112, v159 offset:28928
	s_wait_dscnt 0x6
	ds_load_u16_d16_hi v114, v159 offset:29952
	s_wait_dscnt 0x6
	;; [unrolled: 2-line block ×3, first 2 shown]
	ds_load_u16_d16_hi v113, v159 offset:29440
	ds_load_u16_d16_hi v96, v159 offset:29056
	s_wait_dscnt 0x7
	ds_load_u16_d16_hi v99, v159 offset:30592
	s_wait_dscnt 0x7
	;; [unrolled: 2-line block ×3, first 2 shown]
	ds_load_u16_d16_hi v97, v159 offset:29568
	.loc	1 62 39                         ; persistent_matmul.py:62:39
	s_wait_dscnt 0x4
	v_wmma_f32_16x16x16_f16 v[56:63], v[112:115], v[64:67], v[56:63]
	v_wmma_f32_16x16x16_f16 v[40:47], v[112:115], v[68:71], v[40:47]
	;; [unrolled: 1-line block ×4, first 2 shown]
	s_wait_dscnt 0x0
	v_wmma_f32_16x16x16_f16 v[48:55], v[96:99], v[64:67], v[48:55]
	v_wmma_f32_16x16x16_f16 v[32:39], v[96:99], v[68:71], v[32:39]
	;; [unrolled: 1-line block ×4, first 2 shown]
	.loc	1 43 59                         ; persistent_matmul.py:43:59
	s_wait_alu depctr_sa_sdst(0)
	s_cbranch_vccnz .LBB0_132
; %bb.233:                              ;   in Loop: Header=BB0_133 Depth=1
.Ltmp75:
	.loc	1 10 26                         ; persistent_matmul.py:10:26 @[ persistent_matmul.py:65:90 ]
	v_readlane_b32 s0, v241, 0
	v_readlane_b32 s1, v241, 1
.Ltmp76:
	.loc	1 64 21                         ; persistent_matmul.py:64:21
	s_addk_co_i32 s49, 0x130
.Ltmp77:
	.loc	1 10 26                         ; persistent_matmul.py:10:26 @[ persistent_matmul.py:65:90 ]
	v_readlane_b32 s3, v241, 2
	s_wait_alu depctr_sa_sdst(0)
	s_abs_i32 s16, s49
	s_wait_alu depctr_sa_sdst(0)
	s_mul_u64 s[0:1], s[16:17], s[0:1]
	s_ashr_i32 s0, s49, 31
	s_wait_alu depctr_sa_sdst(0)
	s_mul_i32 s2, s1, s36
	s_xor_b32 s3, s0, s3
	s_wait_alu depctr_sa_sdst(0)
	s_sub_co_i32 s2, s16, s2
	s_add_co_i32 s4, s1, 1
	s_wait_alu depctr_sa_sdst(0)
	s_sub_co_i32 s5, s2, s36
	s_cmp_ge_u32 s2, s36
	s_cselect_b32 s1, s4, s1
	s_wait_alu depctr_sa_sdst(0)
	s_cselect_b32 s2, s5, s2
	s_add_co_i32 s4, s1, 1
	s_wait_alu depctr_sa_sdst(0)
	s_cmp_ge_u32 s2, s36
	s_cselect_b32 s1, s4, s1
	s_wait_alu depctr_sa_sdst(0)
	s_xor_b32 s1, s1, s3
	s_wait_alu depctr_sa_sdst(0)
	s_sub_co_i32 s1, s1, s3
	.loc	1 11 29                         ; persistent_matmul.py:11:29 @[ persistent_matmul.py:65:90 ]
	s_wait_alu depctr_sa_sdst(0)
	s_lshl_b32 s2, s1, 3
	.loc	1 14 23                         ; persistent_matmul.py:14:23 @[ persistent_matmul.py:65:90 ]
	s_mul_i32 s1, s1, s35
	.loc	1 12 35                         ; persistent_matmul.py:12:35 @[ persistent_matmul.py:65:90 ]
	s_wait_alu depctr_sa_sdst(0)
	s_sub_co_i32 s3, s33, s2
	.loc	1 12 48 is_stmt 0               ; persistent_matmul.py:12:48 @[ persistent_matmul.py:65:90 ]
	s_wait_alu depctr_sa_sdst(0)
	s_min_i32 s3, s3, 8
	.loc	1 13 37 is_stmt 1               ; persistent_matmul.py:13:37 @[ persistent_matmul.py:65:90 ]
	s_wait_alu depctr_sa_sdst(0)
	s_abs_i32 s4, s3
	s_wait_alu depctr_sa_sdst(0)
	s_cvt_f32_u32 s5, s4
	s_sub_co_i32 s6, 0, s4
	s_wait_alu depctr_sa_sdst(0)
	s_delay_alu instid0(SALU_CYCLE_1) | instskip(NEXT) | instid1(TRANS32_DEP_1)
	v_rcp_iflag_f32_e32 v64, s5
	v_readfirstlane_b32 s5, v64
	s_mul_f32 s5, s5, 0x4f7ffffe
	s_wait_alu depctr_sa_sdst(0)
	s_delay_alu instid0(SALU_CYCLE_2) | instskip(SKIP_1) | instid1(SALU_CYCLE_2)
	s_cvt_u32_f32 s5, s5
	s_wait_alu depctr_sa_sdst(0)
	s_mul_i32 s6, s6, s5
	s_wait_alu depctr_sa_sdst(0)
	s_mul_hi_u32 s6, s5, s6
	s_wait_alu depctr_sa_sdst(0)
	s_add_co_i32 s5, s5, s6
	s_wait_alu depctr_sa_sdst(0)
	s_mul_hi_u32 s6, s16, s5
	s_wait_alu depctr_sa_sdst(0)
	s_mul_i32 s6, s6, s4
	s_wait_alu depctr_sa_sdst(0)
	s_sub_co_i32 s6, s16, s6
	s_wait_alu depctr_sa_sdst(0)
	s_sub_co_i32 s7, s6, s4
	s_cmp_ge_u32 s6, s4
	s_wait_alu depctr_sa_sdst(0)
	s_cselect_b32 s6, s7, s6
	s_wait_alu depctr_sa_sdst(0)
	s_sub_co_i32 s7, s6, s4
	s_cmp_ge_u32 s6, s4
	s_wait_alu depctr_sa_sdst(0)
	s_cselect_b32 s6, s7, s6
	.loc	1 14 23                         ; persistent_matmul.py:14:23 @[ persistent_matmul.py:65:90 ]
	s_sub_co_i32 s1, s49, s1
	.loc	1 13 37                         ; persistent_matmul.py:13:37 @[ persistent_matmul.py:65:90 ]
	s_wait_alu depctr_sa_sdst(0)
	s_xor_b32 s6, s6, s0
	.loc	1 14 44                         ; persistent_matmul.py:14:44 @[ persistent_matmul.py:65:90 ]
	s_xor_b32 s3, s1, s3
	s_abs_i32 s1, s1
	.loc	1 13 37                         ; persistent_matmul.py:13:37 @[ persistent_matmul.py:65:90 ]
	s_wait_alu depctr_sa_sdst(0)
	s_sub_co_i32 s0, s6, s0
	.loc	1 14 44                         ; persistent_matmul.py:14:44 @[ persistent_matmul.py:65:90 ]
	s_mul_hi_u32 s5, s1, s5
	.loc	1 13 27                         ; persistent_matmul.py:13:27 @[ persistent_matmul.py:65:90 ]
	s_wait_alu depctr_sa_sdst(0)
	s_add_co_i32 s2, s2, s0
	.loc	1 14 44                         ; persistent_matmul.py:14:44 @[ persistent_matmul.py:65:90 ]
	s_mul_i32 s6, s5, s4
	s_ashr_i32 s3, s3, 31
	s_wait_alu depctr_sa_sdst(0)
	s_sub_co_i32 s0, s1, s6
	s_add_co_i32 s1, s5, 1
	s_wait_alu depctr_sa_sdst(0)
	s_sub_co_i32 s6, s0, s4
	s_cmp_ge_u32 s0, s4
	s_cselect_b32 s1, s1, s5
	s_wait_alu depctr_sa_sdst(0)
	s_cselect_b32 s0, s6, s0
	s_add_co_i32 s5, s1, 1
	s_wait_alu depctr_sa_sdst(0)
	s_cmp_ge_u32 s0, s4
	s_cselect_b32 s0, s5, s1
.Ltmp78:
	.loc	1 66 26                         ; persistent_matmul.py:66:26
	s_lshl_b32 s56, s2, 7
.Ltmp79:
	.loc	1 14 44                         ; persistent_matmul.py:14:44 @[ persistent_matmul.py:65:90 ]
	s_wait_alu depctr_sa_sdst(0)
	s_xor_b32 s0, s0, s3
.Ltmp80:
	.loc	1 66 41                         ; persistent_matmul.py:66:41
	v_or_b32_e32 v70, s56, v129
.Ltmp81:
	.loc	1 14 44                         ; persistent_matmul.py:14:44 @[ persistent_matmul.py:65:90 ]
	s_wait_alu depctr_sa_sdst(0)
	s_sub_co_i32 s0, s0, s3
.Ltmp82:
	.loc	1 67 26                         ; persistent_matmul.py:67:26
	s_wait_alu depctr_sa_sdst(0)
	s_lshl_b32 s16, s0, 7
	.loc	1 68 37                         ; persistent_matmul.py:68:37
	v_mul_lo_u32 v64, v70, s18
	.loc	1 67 41                         ; persistent_matmul.py:67:41
	s_wait_alu depctr_sa_sdst(0)
	v_or_b32_e32 v71, s16, v130
	.loc	1 69 37                         ; persistent_matmul.py:69:37
	v_cmp_gt_i32_e64 s15, s22, v70
	s_delay_alu instid0(VALU_DEP_2) | instskip(SKIP_2) | instid1(VALU_DEP_1)
	.loc	1 68 68                         ; persistent_matmul.py:68:68
	v_mul_lo_u32 v66, v71, s19
	.loc	1 69 62                         ; persistent_matmul.py:69:62
	v_cmp_gt_i32_e32 vcc_lo, s23, v71
	.loc	1 68 25                         ; persistent_matmul.py:68:25
	v_ashrrev_i32_e32 v65, 31, v64
	v_lshlrev_b64_e32 v[68:69], 1, v[64:65]
	s_delay_alu instid0(VALU_DEP_4) | instskip(NEXT) | instid1(VALU_DEP_2)
	.loc	1 68 56 is_stmt 0               ; persistent_matmul.py:68:56
	v_ashrrev_i32_e32 v67, 31, v66
	.loc	1 68 25                         ; persistent_matmul.py:68:25
	v_add_co_u32 v96, s0, s20, v68
	s_delay_alu instid0(VALU_DEP_2) | instskip(SKIP_1) | instid1(VALU_DEP_4)
	v_lshlrev_b64_e32 v[64:65], 1, v[66:67]
	s_wait_alu depctr_va_sdst(0)
	v_add_co_ci_u32_e64 v97, null, s21, v69, s0
	.loc	1 69 43 is_stmt 1               ; persistent_matmul.py:69:43
	s_and_b32 s0, s15, vcc_lo
	.loc	1 74 25                         ; persistent_matmul.py:74:25
	s_wait_alu depctr_sa_sdst(0)
	s_and_saveexec_b32 s1, s0
	s_cbranch_execz .LBB0_235
; %bb.234:                              ;   in Loop: Header=BB0_133 Depth=1
	.loc	1 0 25 is_stmt 0                ; persistent_matmul.py:0:25
	v_add_co_u32 v66, s0, v96, v64
	s_wait_alu depctr_va_sdst(0)
	v_add_co_ci_u32_e64 v67, null, v97, v65, s0
	v_cvt_f16_f32_e32 v68, v56
	.loc	1 74 25                         ; persistent_matmul.py:74:25
	global_store_b16 v[66:67], v68, off
.LBB0_235:                              ;   in Loop: Header=BB0_133 Depth=1
	.loc	1 0 25                          ; persistent_matmul.py:0:25
	s_wait_alu depctr_sa_sdst(0)
	s_or_b32 exec_lo, exec_lo, s1
	.loc	1 67 41 is_stmt 1               ; persistent_matmul.py:67:41
	v_or_b32_e32 v68, s16, v134
	s_delay_alu instid0(VALU_DEP_1) | instskip(SKIP_3) | instid1(VALU_DEP_1)
	.loc	1 68 68                         ; persistent_matmul.py:68:68
	v_mul_lo_u32 v66, v68, s19
	.loc	1 69 62                         ; persistent_matmul.py:69:62
	v_cmp_gt_i32_e64 s0, s23, v68
	.loc	1 69 43 is_stmt 0               ; persistent_matmul.py:69:43
	s_and_b32 s1, s15, s0
	.loc	1 68 56 is_stmt 1               ; persistent_matmul.py:68:56
	v_ashrrev_i32_e32 v67, 31, v66
	v_lshlrev_b64_e32 v[66:67], 1, v[66:67]
	.loc	1 74 25                         ; persistent_matmul.py:74:25
	s_wait_alu depctr_sa_sdst(0)
	s_and_saveexec_b32 s2, s1
	s_cbranch_execz .LBB0_237
; %bb.236:                              ;   in Loop: Header=BB0_133 Depth=1
	.loc	1 0 25 is_stmt 0                ; persistent_matmul.py:0:25
	s_delay_alu instid0(VALU_DEP_1)
	.loc	1 68 56 is_stmt 1               ; persistent_matmul.py:68:56
	v_add_co_u32 v68, s1, v96, v66
	s_wait_alu depctr_va_sdst(0)
	v_add_co_ci_u32_e64 v69, null, v97, v67, s1
	.loc	1 73 31                         ; persistent_matmul.py:73:31
	v_cvt_f16_f32_e32 v70, v57
	.loc	1 74 25                         ; persistent_matmul.py:74:25
	global_store_b16 v[68:69], v70, off
.LBB0_237:                              ;   in Loop: Header=BB0_133 Depth=1
	.loc	1 0 25 is_stmt 0                ; persistent_matmul.py:0:25
	s_wait_alu depctr_sa_sdst(0)
	s_or_b32 exec_lo, exec_lo, s2
	.loc	1 67 41 is_stmt 1               ; persistent_matmul.py:67:41
	v_or_b32_e32 v70, s16, v135
	s_delay_alu instid0(VALU_DEP_1) | instskip(SKIP_3) | instid1(VALU_DEP_1)
	.loc	1 68 68                         ; persistent_matmul.py:68:68
	v_mul_lo_u32 v68, v70, s19
	.loc	1 69 62                         ; persistent_matmul.py:69:62
	v_cmp_gt_i32_e64 s1, s23, v70
	.loc	1 69 43 is_stmt 0               ; persistent_matmul.py:69:43
	s_and_b32 s2, s15, s1
	.loc	1 68 56 is_stmt 1               ; persistent_matmul.py:68:56
	v_ashrrev_i32_e32 v69, 31, v68
	v_lshlrev_b64_e32 v[68:69], 1, v[68:69]
	.loc	1 74 25                         ; persistent_matmul.py:74:25
	s_wait_alu depctr_sa_sdst(0)
	s_and_saveexec_b32 s3, s2
	s_cbranch_execz .LBB0_239
; %bb.238:                              ;   in Loop: Header=BB0_133 Depth=1
	.loc	1 0 25 is_stmt 0                ; persistent_matmul.py:0:25
	s_delay_alu instid0(VALU_DEP_1)
	.loc	1 68 56 is_stmt 1               ; persistent_matmul.py:68:56
	v_add_co_u32 v70, s2, v96, v68
	s_wait_alu depctr_va_sdst(0)
	v_add_co_ci_u32_e64 v71, null, v97, v69, s2
	.loc	1 73 31                         ; persistent_matmul.py:73:31
	v_cvt_f16_f32_e32 v72, v58
	.loc	1 74 25                         ; persistent_matmul.py:74:25
	global_store_b16 v[70:71], v72, off
.LBB0_239:                              ;   in Loop: Header=BB0_133 Depth=1
	.loc	1 0 25 is_stmt 0                ; persistent_matmul.py:0:25
	;; [unrolled: 31-line block ×15, first 2 shown]
	s_wait_alu depctr_sa_sdst(0)
	s_or_b32 exec_lo, exec_lo, s16
	.loc	1 66 41 is_stmt 1               ; persistent_matmul.py:66:41
	v_or_b32_e32 v98, s56, v131
	s_delay_alu instid0(VALU_DEP_1) | instskip(SKIP_1) | instid1(VALU_DEP_2)
	.loc	1 68 37                         ; persistent_matmul.py:68:37
	v_mul_lo_u32 v96, v98, s18
	.loc	1 69 37                         ; persistent_matmul.py:69:37
	v_cmp_gt_i32_e64 s15, s22, v98
	.loc	1 68 25                         ; persistent_matmul.py:68:25
	v_ashrrev_i32_e32 v97, 31, v96
	s_delay_alu instid0(VALU_DEP_1) | instskip(NEXT) | instid1(VALU_DEP_1)
	v_lshlrev_b64_e32 v[96:97], 1, v[96:97]
	v_add_co_u32 v96, s16, s20, v96
	s_wait_alu depctr_va_sdst(0)
	s_delay_alu instid0(VALU_DEP_2)
	v_add_co_ci_u32_e64 v97, null, s21, v97, s16
	.loc	1 69 43                         ; persistent_matmul.py:69:43
	s_and_b32 s16, s15, vcc_lo
	.loc	1 74 25                         ; persistent_matmul.py:74:25
	s_wait_alu depctr_sa_sdst(0)
	s_and_saveexec_b32 s58, s16
	s_cbranch_execnz .LBB0_346
; %bb.266:                              ;   in Loop: Header=BB0_133 Depth=1
	.loc	1 0 25 is_stmt 0                ; persistent_matmul.py:0:25
	s_wait_alu depctr_sa_sdst(0)
	s_or_b32 exec_lo, exec_lo, s58
	.loc	1 69 43 is_stmt 1               ; persistent_matmul.py:69:43
	s_and_b32 s16, s15, s0
	.loc	1 74 25                         ; persistent_matmul.py:74:25
	s_wait_alu depctr_sa_sdst(0)
	s_and_saveexec_b32 s58, s16
	s_cbranch_execnz .LBB0_347
.LBB0_267:                              ;   in Loop: Header=BB0_133 Depth=1
	.loc	1 0 25 is_stmt 0                ; persistent_matmul.py:0:25
	s_wait_alu depctr_sa_sdst(0)
	s_or_b32 exec_lo, exec_lo, s58
	.loc	1 69 43 is_stmt 1               ; persistent_matmul.py:69:43
	s_and_b32 s16, s15, s1
	.loc	1 74 25                         ; persistent_matmul.py:74:25
	s_wait_alu depctr_sa_sdst(0)
	s_and_saveexec_b32 s58, s16
	s_cbranch_execnz .LBB0_348
.LBB0_268:                              ;   in Loop: Header=BB0_133 Depth=1
	.loc	1 0 25 is_stmt 0                ; persistent_matmul.py:0:25
	s_wait_alu depctr_sa_sdst(0)
	s_or_b32 exec_lo, exec_lo, s58
	.loc	1 69 43 is_stmt 1               ; persistent_matmul.py:69:43
	s_and_b32 s16, s15, s2
	.loc	1 74 25                         ; persistent_matmul.py:74:25
	s_wait_alu depctr_sa_sdst(0)
	s_and_saveexec_b32 s58, s16
	s_cbranch_execnz .LBB0_349
.LBB0_269:                              ;   in Loop: Header=BB0_133 Depth=1
	.loc	1 0 25 is_stmt 0                ; persistent_matmul.py:0:25
	s_wait_alu depctr_sa_sdst(0)
	s_or_b32 exec_lo, exec_lo, s58
	.loc	1 69 43 is_stmt 1               ; persistent_matmul.py:69:43
	s_and_b32 s16, s15, s3
	.loc	1 74 25                         ; persistent_matmul.py:74:25
	s_wait_alu depctr_sa_sdst(0)
	s_and_saveexec_b32 s58, s16
	s_cbranch_execnz .LBB0_350
.LBB0_270:                              ;   in Loop: Header=BB0_133 Depth=1
	.loc	1 0 25 is_stmt 0                ; persistent_matmul.py:0:25
	s_wait_alu depctr_sa_sdst(0)
	s_or_b32 exec_lo, exec_lo, s58
	.loc	1 69 43 is_stmt 1               ; persistent_matmul.py:69:43
	s_and_b32 s16, s15, s4
	.loc	1 74 25                         ; persistent_matmul.py:74:25
	s_wait_alu depctr_sa_sdst(0)
	s_and_saveexec_b32 s58, s16
	s_cbranch_execnz .LBB0_351
.LBB0_271:                              ;   in Loop: Header=BB0_133 Depth=1
	.loc	1 0 25 is_stmt 0                ; persistent_matmul.py:0:25
	s_wait_alu depctr_sa_sdst(0)
	s_or_b32 exec_lo, exec_lo, s58
	.loc	1 69 43 is_stmt 1               ; persistent_matmul.py:69:43
	s_and_b32 s16, s15, s5
	.loc	1 74 25                         ; persistent_matmul.py:74:25
	s_wait_alu depctr_sa_sdst(0)
	s_and_saveexec_b32 s58, s16
	s_cbranch_execnz .LBB0_352
.LBB0_272:                              ;   in Loop: Header=BB0_133 Depth=1
	.loc	1 0 25 is_stmt 0                ; persistent_matmul.py:0:25
	s_wait_alu depctr_sa_sdst(0)
	s_or_b32 exec_lo, exec_lo, s58
	.loc	1 69 43 is_stmt 1               ; persistent_matmul.py:69:43
	s_and_b32 s16, s15, s6
	.loc	1 74 25                         ; persistent_matmul.py:74:25
	s_wait_alu depctr_sa_sdst(0)
	s_and_saveexec_b32 s58, s16
	s_cbranch_execnz .LBB0_353
.LBB0_273:                              ;   in Loop: Header=BB0_133 Depth=1
	.loc	1 0 25 is_stmt 0                ; persistent_matmul.py:0:25
	s_wait_alu depctr_sa_sdst(0)
	s_or_b32 exec_lo, exec_lo, s58
	.loc	1 69 43 is_stmt 1               ; persistent_matmul.py:69:43
	s_and_b32 s16, s15, s7
	.loc	1 74 25                         ; persistent_matmul.py:74:25
	s_wait_alu depctr_sa_sdst(0)
	s_and_saveexec_b32 s58, s16
	s_cbranch_execnz .LBB0_354
.LBB0_274:                              ;   in Loop: Header=BB0_133 Depth=1
	.loc	1 0 25 is_stmt 0                ; persistent_matmul.py:0:25
	s_wait_alu depctr_sa_sdst(0)
	s_or_b32 exec_lo, exec_lo, s58
	.loc	1 69 43 is_stmt 1               ; persistent_matmul.py:69:43
	s_and_b32 s16, s15, s8
	.loc	1 74 25                         ; persistent_matmul.py:74:25
	s_wait_alu depctr_sa_sdst(0)
	s_and_saveexec_b32 s58, s16
	s_cbranch_execnz .LBB0_355
.LBB0_275:                              ;   in Loop: Header=BB0_133 Depth=1
	.loc	1 0 25 is_stmt 0                ; persistent_matmul.py:0:25
	s_wait_alu depctr_sa_sdst(0)
	s_or_b32 exec_lo, exec_lo, s58
	.loc	1 69 43 is_stmt 1               ; persistent_matmul.py:69:43
	s_and_b32 s16, s15, s9
	.loc	1 74 25                         ; persistent_matmul.py:74:25
	s_wait_alu depctr_sa_sdst(0)
	s_and_saveexec_b32 s58, s16
	s_cbranch_execnz .LBB0_356
.LBB0_276:                              ;   in Loop: Header=BB0_133 Depth=1
	.loc	1 0 25 is_stmt 0                ; persistent_matmul.py:0:25
	s_wait_alu depctr_sa_sdst(0)
	s_or_b32 exec_lo, exec_lo, s58
	.loc	1 69 43 is_stmt 1               ; persistent_matmul.py:69:43
	s_and_b32 s16, s15, s10
	.loc	1 74 25                         ; persistent_matmul.py:74:25
	s_wait_alu depctr_sa_sdst(0)
	s_and_saveexec_b32 s58, s16
	s_cbranch_execnz .LBB0_357
.LBB0_277:                              ;   in Loop: Header=BB0_133 Depth=1
	.loc	1 0 25 is_stmt 0                ; persistent_matmul.py:0:25
	s_wait_alu depctr_sa_sdst(0)
	s_or_b32 exec_lo, exec_lo, s58
	.loc	1 69 43 is_stmt 1               ; persistent_matmul.py:69:43
	s_and_b32 s16, s15, s11
	.loc	1 74 25                         ; persistent_matmul.py:74:25
	s_wait_alu depctr_sa_sdst(0)
	s_and_saveexec_b32 s58, s16
	s_cbranch_execnz .LBB0_358
.LBB0_278:                              ;   in Loop: Header=BB0_133 Depth=1
	.loc	1 0 25 is_stmt 0                ; persistent_matmul.py:0:25
	s_wait_alu depctr_sa_sdst(0)
	s_or_b32 exec_lo, exec_lo, s58
	.loc	1 69 43 is_stmt 1               ; persistent_matmul.py:69:43
	s_and_b32 s16, s15, s12
	.loc	1 74 25                         ; persistent_matmul.py:74:25
	s_wait_alu depctr_sa_sdst(0)
	s_and_saveexec_b32 s58, s16
	s_cbranch_execnz .LBB0_359
.LBB0_279:                              ;   in Loop: Header=BB0_133 Depth=1
	.loc	1 0 25 is_stmt 0                ; persistent_matmul.py:0:25
	s_wait_alu depctr_sa_sdst(0)
	s_or_b32 exec_lo, exec_lo, s58
	.loc	1 69 43 is_stmt 1               ; persistent_matmul.py:69:43
	s_and_b32 s16, s15, s13
	.loc	1 74 25                         ; persistent_matmul.py:74:25
	s_wait_alu depctr_sa_sdst(0)
	s_and_saveexec_b32 s58, s16
	s_cbranch_execnz .LBB0_360
.LBB0_280:                              ;   in Loop: Header=BB0_133 Depth=1
	.loc	1 0 25 is_stmt 0                ; persistent_matmul.py:0:25
	s_wait_alu depctr_sa_sdst(0)
	s_or_b32 exec_lo, exec_lo, s58
	.loc	1 69 43 is_stmt 1               ; persistent_matmul.py:69:43
	s_and_b32 s15, s15, s14
	.loc	1 74 25                         ; persistent_matmul.py:74:25
	s_wait_alu depctr_sa_sdst(0)
	s_and_saveexec_b32 s16, s15
	s_cbranch_execz .LBB0_282
.LBB0_281:                              ;   in Loop: Header=BB0_133 Depth=1
	.loc	1 68 56                         ; persistent_matmul.py:68:56
	v_add_co_u32 v96, s15, v96, v94
	s_wait_alu depctr_va_sdst(0)
	v_add_co_ci_u32_e64 v97, null, v97, v95, s15
	.loc	1 73 31                         ; persistent_matmul.py:73:31
	v_cvt_f16_f32_e32 v98, v39
	.loc	1 74 25                         ; persistent_matmul.py:74:25
	global_store_b16 v[96:97], v98, off
.LBB0_282:                              ;   in Loop: Header=BB0_133 Depth=1
	.loc	1 0 25 is_stmt 0                ; persistent_matmul.py:0:25
	s_wait_alu depctr_sa_sdst(0)
	s_or_b32 exec_lo, exec_lo, s16
	.loc	1 66 41 is_stmt 1               ; persistent_matmul.py:66:41
	v_or_b32_e32 v98, s56, v132
	s_delay_alu instid0(VALU_DEP_1) | instskip(SKIP_1) | instid1(VALU_DEP_2)
	.loc	1 68 37                         ; persistent_matmul.py:68:37
	v_mul_lo_u32 v96, v98, s18
	.loc	1 69 37                         ; persistent_matmul.py:69:37
	v_cmp_gt_i32_e64 s15, s22, v98
	.loc	1 68 25                         ; persistent_matmul.py:68:25
	v_ashrrev_i32_e32 v97, 31, v96
	s_delay_alu instid0(VALU_DEP_1) | instskip(NEXT) | instid1(VALU_DEP_1)
	v_lshlrev_b64_e32 v[96:97], 1, v[96:97]
	v_add_co_u32 v96, s16, s20, v96
	s_wait_alu depctr_va_sdst(0)
	s_delay_alu instid0(VALU_DEP_2)
	v_add_co_ci_u32_e64 v97, null, s21, v97, s16
	.loc	1 69 43                         ; persistent_matmul.py:69:43
	s_and_b32 s16, s15, vcc_lo
	.loc	1 74 25                         ; persistent_matmul.py:74:25
	s_wait_alu depctr_sa_sdst(0)
	s_and_saveexec_b32 s58, s16
	s_cbranch_execnz .LBB0_361
; %bb.283:                              ;   in Loop: Header=BB0_133 Depth=1
	.loc	1 0 25 is_stmt 0                ; persistent_matmul.py:0:25
	s_wait_alu depctr_sa_sdst(0)
	s_or_b32 exec_lo, exec_lo, s58
	.loc	1 69 43 is_stmt 1               ; persistent_matmul.py:69:43
	s_and_b32 s16, s15, s0
	.loc	1 74 25                         ; persistent_matmul.py:74:25
	s_wait_alu depctr_sa_sdst(0)
	s_and_saveexec_b32 s58, s16
	s_cbranch_execnz .LBB0_362
.LBB0_284:                              ;   in Loop: Header=BB0_133 Depth=1
	.loc	1 0 25 is_stmt 0                ; persistent_matmul.py:0:25
	s_wait_alu depctr_sa_sdst(0)
	s_or_b32 exec_lo, exec_lo, s58
	.loc	1 69 43 is_stmt 1               ; persistent_matmul.py:69:43
	s_and_b32 s16, s15, s1
	.loc	1 74 25                         ; persistent_matmul.py:74:25
	s_wait_alu depctr_sa_sdst(0)
	s_and_saveexec_b32 s58, s16
	s_cbranch_execnz .LBB0_363
.LBB0_285:                              ;   in Loop: Header=BB0_133 Depth=1
	.loc	1 0 25 is_stmt 0                ; persistent_matmul.py:0:25
	s_wait_alu depctr_sa_sdst(0)
	s_or_b32 exec_lo, exec_lo, s58
	.loc	1 69 43 is_stmt 1               ; persistent_matmul.py:69:43
	s_and_b32 s16, s15, s2
	.loc	1 74 25                         ; persistent_matmul.py:74:25
	s_wait_alu depctr_sa_sdst(0)
	s_and_saveexec_b32 s58, s16
	s_cbranch_execnz .LBB0_364
.LBB0_286:                              ;   in Loop: Header=BB0_133 Depth=1
	.loc	1 0 25 is_stmt 0                ; persistent_matmul.py:0:25
	s_wait_alu depctr_sa_sdst(0)
	s_or_b32 exec_lo, exec_lo, s58
	.loc	1 69 43 is_stmt 1               ; persistent_matmul.py:69:43
	s_and_b32 s16, s15, s3
	.loc	1 74 25                         ; persistent_matmul.py:74:25
	s_wait_alu depctr_sa_sdst(0)
	s_and_saveexec_b32 s58, s16
	s_cbranch_execnz .LBB0_365
.LBB0_287:                              ;   in Loop: Header=BB0_133 Depth=1
	.loc	1 0 25 is_stmt 0                ; persistent_matmul.py:0:25
	s_wait_alu depctr_sa_sdst(0)
	s_or_b32 exec_lo, exec_lo, s58
	.loc	1 69 43 is_stmt 1               ; persistent_matmul.py:69:43
	s_and_b32 s16, s15, s4
	.loc	1 74 25                         ; persistent_matmul.py:74:25
	s_wait_alu depctr_sa_sdst(0)
	s_and_saveexec_b32 s58, s16
	s_cbranch_execnz .LBB0_366
.LBB0_288:                              ;   in Loop: Header=BB0_133 Depth=1
	.loc	1 0 25 is_stmt 0                ; persistent_matmul.py:0:25
	s_wait_alu depctr_sa_sdst(0)
	s_or_b32 exec_lo, exec_lo, s58
	.loc	1 69 43 is_stmt 1               ; persistent_matmul.py:69:43
	s_and_b32 s16, s15, s5
	.loc	1 74 25                         ; persistent_matmul.py:74:25
	s_wait_alu depctr_sa_sdst(0)
	s_and_saveexec_b32 s58, s16
	s_cbranch_execnz .LBB0_367
.LBB0_289:                              ;   in Loop: Header=BB0_133 Depth=1
	.loc	1 0 25 is_stmt 0                ; persistent_matmul.py:0:25
	s_wait_alu depctr_sa_sdst(0)
	s_or_b32 exec_lo, exec_lo, s58
	.loc	1 69 43 is_stmt 1               ; persistent_matmul.py:69:43
	s_and_b32 s16, s15, s6
	.loc	1 74 25                         ; persistent_matmul.py:74:25
	s_wait_alu depctr_sa_sdst(0)
	s_and_saveexec_b32 s58, s16
	s_cbranch_execnz .LBB0_368
.LBB0_290:                              ;   in Loop: Header=BB0_133 Depth=1
	.loc	1 0 25 is_stmt 0                ; persistent_matmul.py:0:25
	s_wait_alu depctr_sa_sdst(0)
	s_or_b32 exec_lo, exec_lo, s58
	.loc	1 69 43 is_stmt 1               ; persistent_matmul.py:69:43
	s_and_b32 s16, s15, s7
	.loc	1 74 25                         ; persistent_matmul.py:74:25
	s_wait_alu depctr_sa_sdst(0)
	s_and_saveexec_b32 s58, s16
	s_cbranch_execnz .LBB0_369
.LBB0_291:                              ;   in Loop: Header=BB0_133 Depth=1
	.loc	1 0 25 is_stmt 0                ; persistent_matmul.py:0:25
	s_wait_alu depctr_sa_sdst(0)
	s_or_b32 exec_lo, exec_lo, s58
	.loc	1 69 43 is_stmt 1               ; persistent_matmul.py:69:43
	s_and_b32 s16, s15, s8
	.loc	1 74 25                         ; persistent_matmul.py:74:25
	s_wait_alu depctr_sa_sdst(0)
	s_and_saveexec_b32 s58, s16
	s_cbranch_execnz .LBB0_370
.LBB0_292:                              ;   in Loop: Header=BB0_133 Depth=1
	.loc	1 0 25 is_stmt 0                ; persistent_matmul.py:0:25
	s_wait_alu depctr_sa_sdst(0)
	s_or_b32 exec_lo, exec_lo, s58
	.loc	1 69 43 is_stmt 1               ; persistent_matmul.py:69:43
	s_and_b32 s16, s15, s9
	.loc	1 74 25                         ; persistent_matmul.py:74:25
	s_wait_alu depctr_sa_sdst(0)
	s_and_saveexec_b32 s58, s16
	s_cbranch_execnz .LBB0_371
.LBB0_293:                              ;   in Loop: Header=BB0_133 Depth=1
	.loc	1 0 25 is_stmt 0                ; persistent_matmul.py:0:25
	s_wait_alu depctr_sa_sdst(0)
	s_or_b32 exec_lo, exec_lo, s58
	.loc	1 69 43 is_stmt 1               ; persistent_matmul.py:69:43
	s_and_b32 s16, s15, s10
	.loc	1 74 25                         ; persistent_matmul.py:74:25
	s_wait_alu depctr_sa_sdst(0)
	s_and_saveexec_b32 s58, s16
	s_cbranch_execnz .LBB0_372
.LBB0_294:                              ;   in Loop: Header=BB0_133 Depth=1
	.loc	1 0 25 is_stmt 0                ; persistent_matmul.py:0:25
	s_wait_alu depctr_sa_sdst(0)
	s_or_b32 exec_lo, exec_lo, s58
	.loc	1 69 43 is_stmt 1               ; persistent_matmul.py:69:43
	s_and_b32 s16, s15, s11
	.loc	1 74 25                         ; persistent_matmul.py:74:25
	s_wait_alu depctr_sa_sdst(0)
	s_and_saveexec_b32 s58, s16
	s_cbranch_execnz .LBB0_373
.LBB0_295:                              ;   in Loop: Header=BB0_133 Depth=1
	.loc	1 0 25 is_stmt 0                ; persistent_matmul.py:0:25
	s_wait_alu depctr_sa_sdst(0)
	s_or_b32 exec_lo, exec_lo, s58
	.loc	1 69 43 is_stmt 1               ; persistent_matmul.py:69:43
	s_and_b32 s16, s15, s12
	.loc	1 74 25                         ; persistent_matmul.py:74:25
	s_wait_alu depctr_sa_sdst(0)
	s_and_saveexec_b32 s58, s16
	s_cbranch_execnz .LBB0_374
.LBB0_296:                              ;   in Loop: Header=BB0_133 Depth=1
	.loc	1 0 25 is_stmt 0                ; persistent_matmul.py:0:25
	s_wait_alu depctr_sa_sdst(0)
	s_or_b32 exec_lo, exec_lo, s58
	.loc	1 69 43 is_stmt 1               ; persistent_matmul.py:69:43
	s_and_b32 s16, s15, s13
	.loc	1 74 25                         ; persistent_matmul.py:74:25
	s_wait_alu depctr_sa_sdst(0)
	s_and_saveexec_b32 s58, s16
	s_cbranch_execnz .LBB0_375
.LBB0_297:                              ;   in Loop: Header=BB0_133 Depth=1
	.loc	1 0 25 is_stmt 0                ; persistent_matmul.py:0:25
	s_wait_alu depctr_sa_sdst(0)
	s_or_b32 exec_lo, exec_lo, s58
	.loc	1 69 43 is_stmt 1               ; persistent_matmul.py:69:43
	s_and_b32 s15, s15, s14
	.loc	1 74 25                         ; persistent_matmul.py:74:25
	s_wait_alu depctr_sa_sdst(0)
	s_and_saveexec_b32 s16, s15
	s_cbranch_execz .LBB0_299
.LBB0_298:                              ;   in Loop: Header=BB0_133 Depth=1
	.loc	1 68 56                         ; persistent_matmul.py:68:56
	v_add_co_u32 v96, s15, v96, v94
	s_wait_alu depctr_va_sdst(0)
	v_add_co_ci_u32_e64 v97, null, v97, v95, s15
	.loc	1 73 31                         ; persistent_matmul.py:73:31
	v_cvt_f16_f32_e32 v98, v23
	.loc	1 74 25                         ; persistent_matmul.py:74:25
	global_store_b16 v[96:97], v98, off
.LBB0_299:                              ;   in Loop: Header=BB0_133 Depth=1
	.loc	1 0 25 is_stmt 0                ; persistent_matmul.py:0:25
	s_wait_alu depctr_sa_sdst(0)
	s_or_b32 exec_lo, exec_lo, s16
	.loc	1 66 41 is_stmt 1               ; persistent_matmul.py:66:41
	v_or_b32_e32 v98, s56, v133
	s_delay_alu instid0(VALU_DEP_1) | instskip(SKIP_3) | instid1(VALU_DEP_1)
	.loc	1 68 37                         ; persistent_matmul.py:68:37
	v_mul_lo_u32 v96, v98, s18
	.loc	1 69 37                         ; persistent_matmul.py:69:37
	v_cmp_gt_i32_e64 s15, s22, v98
	.loc	1 69 43 is_stmt 0               ; persistent_matmul.py:69:43
	s_and_b32 s56, s15, vcc_lo
	.loc	1 68 25 is_stmt 1               ; persistent_matmul.py:68:25
	v_ashrrev_i32_e32 v97, 31, v96
	v_lshlrev_b64_e32 v[96:97], 1, v[96:97]
	s_delay_alu instid0(VALU_DEP_1) | instskip(SKIP_1) | instid1(VALU_DEP_2)
	v_add_co_u32 v96, s16, s20, v96
	s_wait_alu depctr_va_sdst(0)
	v_add_co_ci_u32_e64 v97, null, s21, v97, s16
	.loc	1 74 25                         ; persistent_matmul.py:74:25
	s_wait_alu depctr_sa_sdst(0)
	s_and_saveexec_b32 s16, s56
	s_cbranch_execnz .LBB0_376
; %bb.300:                              ;   in Loop: Header=BB0_133 Depth=1
	.loc	1 0 25 is_stmt 0                ; persistent_matmul.py:0:25
	s_wait_alu depctr_sa_sdst(0)
	s_or_b32 exec_lo, exec_lo, s16
	.loc	1 69 43 is_stmt 1               ; persistent_matmul.py:69:43
	s_and_b32 s16, s15, s0
	.loc	1 74 25                         ; persistent_matmul.py:74:25
	s_wait_alu depctr_sa_sdst(0)
	s_and_saveexec_b32 s0, s16
	s_cbranch_execnz .LBB0_377
.LBB0_301:                              ;   in Loop: Header=BB0_133 Depth=1
	.loc	1 0 25 is_stmt 0                ; persistent_matmul.py:0:25
	s_wait_alu depctr_sa_sdst(0)
	s_or_b32 exec_lo, exec_lo, s0
	.loc	1 69 43 is_stmt 1               ; persistent_matmul.py:69:43
	s_and_b32 s1, s15, s1
	.loc	1 74 25                         ; persistent_matmul.py:74:25
	s_wait_alu depctr_sa_sdst(0)
	s_and_saveexec_b32 s0, s1
	s_cbranch_execnz .LBB0_378
.LBB0_302:                              ;   in Loop: Header=BB0_133 Depth=1
	.loc	1 0 25 is_stmt 0                ; persistent_matmul.py:0:25
	s_wait_alu depctr_sa_sdst(0)
	s_or_b32 exec_lo, exec_lo, s0
	.loc	1 69 43 is_stmt 1               ; persistent_matmul.py:69:43
	s_and_b32 s1, s15, s2
	.loc	1 74 25                         ; persistent_matmul.py:74:25
	s_wait_alu depctr_sa_sdst(0)
	s_and_saveexec_b32 s0, s1
	s_cbranch_execnz .LBB0_379
.LBB0_303:                              ;   in Loop: Header=BB0_133 Depth=1
	.loc	1 0 25 is_stmt 0                ; persistent_matmul.py:0:25
	s_wait_alu depctr_sa_sdst(0)
	s_or_b32 exec_lo, exec_lo, s0
	.loc	1 69 43 is_stmt 1               ; persistent_matmul.py:69:43
	s_and_b32 s1, s15, s3
	.loc	1 74 25                         ; persistent_matmul.py:74:25
	s_wait_alu depctr_sa_sdst(0)
	s_and_saveexec_b32 s0, s1
	s_cbranch_execnz .LBB0_380
.LBB0_304:                              ;   in Loop: Header=BB0_133 Depth=1
	.loc	1 0 25 is_stmt 0                ; persistent_matmul.py:0:25
	s_wait_alu depctr_sa_sdst(0)
	s_or_b32 exec_lo, exec_lo, s0
	.loc	1 69 43 is_stmt 1               ; persistent_matmul.py:69:43
	s_and_b32 s1, s15, s4
	.loc	1 74 25                         ; persistent_matmul.py:74:25
	s_wait_alu depctr_sa_sdst(0)
	s_and_saveexec_b32 s0, s1
	s_cbranch_execnz .LBB0_381
.LBB0_305:                              ;   in Loop: Header=BB0_133 Depth=1
	.loc	1 0 25 is_stmt 0                ; persistent_matmul.py:0:25
	s_wait_alu depctr_sa_sdst(0)
	s_or_b32 exec_lo, exec_lo, s0
	.loc	1 69 43 is_stmt 1               ; persistent_matmul.py:69:43
	s_and_b32 s1, s15, s5
	.loc	1 74 25                         ; persistent_matmul.py:74:25
	s_wait_alu depctr_sa_sdst(0)
	s_and_saveexec_b32 s0, s1
	s_cbranch_execnz .LBB0_382
.LBB0_306:                              ;   in Loop: Header=BB0_133 Depth=1
	.loc	1 0 25 is_stmt 0                ; persistent_matmul.py:0:25
	s_wait_alu depctr_sa_sdst(0)
	s_or_b32 exec_lo, exec_lo, s0
	.loc	1 69 43 is_stmt 1               ; persistent_matmul.py:69:43
	s_and_b32 s1, s15, s6
	.loc	1 74 25                         ; persistent_matmul.py:74:25
	s_wait_alu depctr_sa_sdst(0)
	s_and_saveexec_b32 s0, s1
	s_cbranch_execnz .LBB0_383
.LBB0_307:                              ;   in Loop: Header=BB0_133 Depth=1
	.loc	1 0 25 is_stmt 0                ; persistent_matmul.py:0:25
	s_wait_alu depctr_sa_sdst(0)
	s_or_b32 exec_lo, exec_lo, s0
	.loc	1 69 43 is_stmt 1               ; persistent_matmul.py:69:43
	s_and_b32 s1, s15, s7
	.loc	1 74 25                         ; persistent_matmul.py:74:25
	s_wait_alu depctr_sa_sdst(0)
	s_and_saveexec_b32 s0, s1
	s_cbranch_execnz .LBB0_384
.LBB0_308:                              ;   in Loop: Header=BB0_133 Depth=1
	.loc	1 0 25 is_stmt 0                ; persistent_matmul.py:0:25
	s_wait_alu depctr_sa_sdst(0)
	s_or_b32 exec_lo, exec_lo, s0
	.loc	1 69 43 is_stmt 1               ; persistent_matmul.py:69:43
	s_and_b32 s1, s15, s8
	.loc	1 74 25                         ; persistent_matmul.py:74:25
	s_wait_alu depctr_sa_sdst(0)
	s_and_saveexec_b32 s0, s1
	s_cbranch_execnz .LBB0_385
.LBB0_309:                              ;   in Loop: Header=BB0_133 Depth=1
	.loc	1 0 25 is_stmt 0                ; persistent_matmul.py:0:25
	s_wait_alu depctr_sa_sdst(0)
	s_or_b32 exec_lo, exec_lo, s0
	.loc	1 69 43 is_stmt 1               ; persistent_matmul.py:69:43
	s_and_b32 s1, s15, s9
	.loc	1 74 25                         ; persistent_matmul.py:74:25
	s_wait_alu depctr_sa_sdst(0)
	s_and_saveexec_b32 s0, s1
	s_cbranch_execnz .LBB0_386
.LBB0_310:                              ;   in Loop: Header=BB0_133 Depth=1
	.loc	1 0 25 is_stmt 0                ; persistent_matmul.py:0:25
	s_wait_alu depctr_sa_sdst(0)
	s_or_b32 exec_lo, exec_lo, s0
	.loc	1 69 43 is_stmt 1               ; persistent_matmul.py:69:43
	s_and_b32 s1, s15, s10
	.loc	1 74 25                         ; persistent_matmul.py:74:25
	s_wait_alu depctr_sa_sdst(0)
	s_and_saveexec_b32 s0, s1
	s_cbranch_execnz .LBB0_387
.LBB0_311:                              ;   in Loop: Header=BB0_133 Depth=1
	.loc	1 0 25 is_stmt 0                ; persistent_matmul.py:0:25
	s_wait_alu depctr_sa_sdst(0)
	s_or_b32 exec_lo, exec_lo, s0
	.loc	1 69 43 is_stmt 1               ; persistent_matmul.py:69:43
	s_and_b32 s1, s15, s11
	.loc	1 74 25                         ; persistent_matmul.py:74:25
	s_wait_alu depctr_sa_sdst(0)
	s_and_saveexec_b32 s0, s1
	s_cbranch_execnz .LBB0_388
.LBB0_312:                              ;   in Loop: Header=BB0_133 Depth=1
	.loc	1 0 25 is_stmt 0                ; persistent_matmul.py:0:25
	s_wait_alu depctr_sa_sdst(0)
	s_or_b32 exec_lo, exec_lo, s0
	.loc	1 69 43 is_stmt 1               ; persistent_matmul.py:69:43
	s_and_b32 s1, s15, s12
	.loc	1 74 25                         ; persistent_matmul.py:74:25
	s_wait_alu depctr_sa_sdst(0)
	s_and_saveexec_b32 s0, s1
	s_cbranch_execnz .LBB0_389
.LBB0_313:                              ;   in Loop: Header=BB0_133 Depth=1
	.loc	1 0 25 is_stmt 0                ; persistent_matmul.py:0:25
	s_wait_alu depctr_sa_sdst(0)
	s_or_b32 exec_lo, exec_lo, s0
	.loc	1 69 43 is_stmt 1               ; persistent_matmul.py:69:43
	s_and_b32 s1, s15, s13
	.loc	1 74 25                         ; persistent_matmul.py:74:25
	s_wait_alu depctr_sa_sdst(0)
	s_and_saveexec_b32 s0, s1
	s_cbranch_execnz .LBB0_390
.LBB0_314:                              ;   in Loop: Header=BB0_133 Depth=1
	.loc	1 0 25 is_stmt 0                ; persistent_matmul.py:0:25
	s_wait_alu depctr_sa_sdst(0)
	s_or_b32 exec_lo, exec_lo, s0
	.loc	1 69 43 is_stmt 1               ; persistent_matmul.py:69:43
	s_and_b32 s1, s15, s14
	.loc	1 74 25                         ; persistent_matmul.py:74:25
	s_wait_alu depctr_sa_sdst(0)
	s_and_saveexec_b32 s0, s1
	s_cbranch_execz .LBB0_131
	s_branch .LBB0_391
.LBB0_315:                              ;   in Loop: Header=BB0_133 Depth=1
	.loc	1 56 41                         ; persistent_matmul.py:56:41
	s_or_b32 s0, s1, s101
	.loc	1 58 60                         ; persistent_matmul.py:58:60
	s_wait_kmcnt 0x0
	s_wait_alu depctr_sa_sdst(0)
	v_mad_co_u64_u32 v[196:197], null, s0, s100, v[128:129]
	s_delay_alu instid0(VALU_DEP_1) | instskip(NEXT) | instid1(VALU_DEP_1)
	.loc	1 58 30 is_stmt 0               ; persistent_matmul.py:58:30
	v_ashrrev_i32_e32 v197, 31, v196
	v_lshlrev_b64_e32 v[196:197], 1, v[196:197]
	s_delay_alu instid0(VALU_DEP_1) | instskip(SKIP_1) | instid1(VALU_DEP_2)
	v_add_co_u32 v196, vcc_lo, s30, v196
	s_wait_alu depctr_va_vcc(0)
	v_add_co_ci_u32_e64 v197, null, s31, v197, vcc_lo
	.loc	1 61 24 is_stmt 1               ; persistent_matmul.py:61:24
	global_load_u16 v196, v[196:197], off
	.loc	1 61 64 is_stmt 0               ; persistent_matmul.py:61:64
	s_cmp_ge_i32 s103, s2
	.loc	1 61 24                         ; persistent_matmul.py:61:24
	s_cbranch_scc1 .LBB0_201
.LBB0_316:                              ;   in Loop: Header=BB0_133 Depth=1
	.loc	1 56 41 is_stmt 1               ; persistent_matmul.py:56:41
	s_or_b32 s0, s1, s103
	.loc	1 58 60                         ; persistent_matmul.py:58:60
	s_wait_kmcnt 0x0
	s_wait_alu depctr_sa_sdst(0)
	v_mad_co_u64_u32 v[197:198], null, s0, s100, v[128:129]
	s_delay_alu instid0(VALU_DEP_1) | instskip(NEXT) | instid1(VALU_DEP_1)
	.loc	1 58 30 is_stmt 0               ; persistent_matmul.py:58:30
	v_ashrrev_i32_e32 v198, 31, v197
	v_lshlrev_b64_e32 v[197:198], 1, v[197:198]
	s_delay_alu instid0(VALU_DEP_1) | instskip(SKIP_1) | instid1(VALU_DEP_2)
	v_add_co_u32 v197, vcc_lo, s30, v197
	s_wait_alu depctr_va_vcc(0)
	v_add_co_ci_u32_e64 v198, null, s31, v198, vcc_lo
	.loc	1 61 24 is_stmt 1               ; persistent_matmul.py:61:24
	global_load_u16 v195, v[197:198], off
	v_dual_mov_b32 v197, 0 :: v_dual_mov_b32 v198, 0
	.loc	1 61 64 is_stmt 0               ; persistent_matmul.py:61:64
	s_cmp_ge_i32 vcc_hi, s2
	.loc	1 61 24                         ; persistent_matmul.py:61:24
	s_cbranch_scc1 .LBB0_202
.LBB0_317:                              ;   in Loop: Header=BB0_133 Depth=1
	.loc	1 56 41 is_stmt 1               ; persistent_matmul.py:56:41
	s_or_b32 s0, s1, vcc_hi
	.loc	1 58 60                         ; persistent_matmul.py:58:60
	s_wait_kmcnt 0x0
	s_wait_alu depctr_sa_sdst(0)
	v_mad_co_u64_u32 v[198:199], null, s0, s100, v[128:129]
	s_delay_alu instid0(VALU_DEP_1) | instskip(NEXT) | instid1(VALU_DEP_1)
	.loc	1 58 30 is_stmt 0               ; persistent_matmul.py:58:30
	v_ashrrev_i32_e32 v199, 31, v198
	v_lshlrev_b64_e32 v[198:199], 1, v[198:199]
	s_delay_alu instid0(VALU_DEP_1) | instskip(SKIP_1) | instid1(VALU_DEP_2)
	v_add_co_u32 v198, vcc_lo, s30, v198
	s_wait_alu depctr_va_vcc(0)
	v_add_co_ci_u32_e64 v199, null, s31, v199, vcc_lo
	.loc	1 61 24 is_stmt 1               ; persistent_matmul.py:61:24
	global_load_u16 v198, v[198:199], off
	.loc	1 61 64 is_stmt 0               ; persistent_matmul.py:61:64
	s_cmp_ge_i32 s38, s2
	.loc	1 61 24                         ; persistent_matmul.py:61:24
	s_cbranch_scc1 .LBB0_203
.LBB0_318:                              ;   in Loop: Header=BB0_133 Depth=1
	.loc	1 56 41 is_stmt 1               ; persistent_matmul.py:56:41
	s_or_b32 s0, s1, s38
	.loc	1 58 60                         ; persistent_matmul.py:58:60
	s_wait_kmcnt 0x0
	s_wait_alu depctr_sa_sdst(0)
	v_mad_co_u64_u32 v[199:200], null, s0, s100, v[128:129]
	s_delay_alu instid0(VALU_DEP_1) | instskip(NEXT) | instid1(VALU_DEP_1)
	.loc	1 58 30 is_stmt 0               ; persistent_matmul.py:58:30
	v_ashrrev_i32_e32 v200, 31, v199
	v_lshlrev_b64_e32 v[199:200], 1, v[199:200]
	s_delay_alu instid0(VALU_DEP_1) | instskip(SKIP_1) | instid1(VALU_DEP_2)
	v_add_co_u32 v199, vcc_lo, s30, v199
	s_wait_alu depctr_va_vcc(0)
	v_add_co_ci_u32_e64 v200, null, s31, v200, vcc_lo
	.loc	1 61 24 is_stmt 1               ; persistent_matmul.py:61:24
	global_load_u16 v197, v[199:200], off
	v_dual_mov_b32 v199, 0 :: v_dual_mov_b32 v200, 0
	.loc	1 61 64 is_stmt 0               ; persistent_matmul.py:61:64
	s_cmp_ge_i32 s43, s2
	.loc	1 61 24                         ; persistent_matmul.py:61:24
	s_cbranch_scc1 .LBB0_204
.LBB0_319:                              ;   in Loop: Header=BB0_133 Depth=1
	.loc	1 56 41 is_stmt 1               ; persistent_matmul.py:56:41
	s_or_b32 s0, s1, s43
	.loc	1 58 60                         ; persistent_matmul.py:58:60
	s_wait_kmcnt 0x0
	s_wait_alu depctr_sa_sdst(0)
	v_mad_co_u64_u32 v[200:201], null, s0, s100, v[128:129]
	s_delay_alu instid0(VALU_DEP_1) | instskip(NEXT) | instid1(VALU_DEP_1)
	.loc	1 58 30 is_stmt 0               ; persistent_matmul.py:58:30
	v_ashrrev_i32_e32 v201, 31, v200
	v_lshlrev_b64_e32 v[200:201], 1, v[200:201]
	s_delay_alu instid0(VALU_DEP_1) | instskip(SKIP_1) | instid1(VALU_DEP_2)
	v_add_co_u32 v200, vcc_lo, s30, v200
	s_wait_alu depctr_va_vcc(0)
	v_add_co_ci_u32_e64 v201, null, s31, v201, vcc_lo
	.loc	1 61 24 is_stmt 1               ; persistent_matmul.py:61:24
	global_load_u16 v200, v[200:201], off
	.loc	1 61 64 is_stmt 0               ; persistent_matmul.py:61:64
	s_cmp_ge_i32 s46, s2
	.loc	1 61 24                         ; persistent_matmul.py:61:24
	s_cbranch_scc1 .LBB0_205
.LBB0_320:                              ;   in Loop: Header=BB0_133 Depth=1
	.loc	1 56 41 is_stmt 1               ; persistent_matmul.py:56:41
	s_or_b32 s0, s1, s46
	.loc	1 58 60                         ; persistent_matmul.py:58:60
	s_wait_kmcnt 0x0
	s_wait_alu depctr_sa_sdst(0)
	v_mad_co_u64_u32 v[201:202], null, s0, s100, v[128:129]
	s_delay_alu instid0(VALU_DEP_1) | instskip(NEXT) | instid1(VALU_DEP_1)
	.loc	1 58 30 is_stmt 0               ; persistent_matmul.py:58:30
	v_ashrrev_i32_e32 v202, 31, v201
	v_lshlrev_b64_e32 v[201:202], 1, v[201:202]
	s_delay_alu instid0(VALU_DEP_1) | instskip(SKIP_1) | instid1(VALU_DEP_2)
	v_add_co_u32 v201, vcc_lo, s30, v201
	s_wait_alu depctr_va_vcc(0)
	v_add_co_ci_u32_e64 v202, null, s31, v202, vcc_lo
	.loc	1 61 24 is_stmt 1               ; persistent_matmul.py:61:24
	global_load_u16 v199, v[201:202], off
	v_dual_mov_b32 v201, 0 :: v_dual_mov_b32 v202, 0
	.loc	1 61 64 is_stmt 0               ; persistent_matmul.py:61:64
	s_cmp_ge_i32 s48, s2
	.loc	1 61 24                         ; persistent_matmul.py:61:24
	s_cbranch_scc1 .LBB0_206
.LBB0_321:                              ;   in Loop: Header=BB0_133 Depth=1
	.loc	1 56 41 is_stmt 1               ; persistent_matmul.py:56:41
	s_or_b32 s0, s1, s48
	.loc	1 58 60                         ; persistent_matmul.py:58:60
	s_wait_kmcnt 0x0
	s_wait_alu depctr_sa_sdst(0)
	v_mad_co_u64_u32 v[202:203], null, s0, s100, v[128:129]
	s_delay_alu instid0(VALU_DEP_1) | instskip(NEXT) | instid1(VALU_DEP_1)
	.loc	1 58 30 is_stmt 0               ; persistent_matmul.py:58:30
	v_ashrrev_i32_e32 v203, 31, v202
	v_lshlrev_b64_e32 v[202:203], 1, v[202:203]
	s_delay_alu instid0(VALU_DEP_1) | instskip(SKIP_1) | instid1(VALU_DEP_2)
	v_add_co_u32 v202, vcc_lo, s30, v202
	s_wait_alu depctr_va_vcc(0)
	v_add_co_ci_u32_e64 v203, null, s31, v203, vcc_lo
	.loc	1 61 24 is_stmt 1               ; persistent_matmul.py:61:24
	global_load_u16 v202, v[202:203], off
	.loc	1 61 64 is_stmt 0               ; persistent_matmul.py:61:64
	s_cmp_ge_i32 s51, s2
	.loc	1 61 24                         ; persistent_matmul.py:61:24
	s_cbranch_scc1 .LBB0_207
.LBB0_322:                              ;   in Loop: Header=BB0_133 Depth=1
	.loc	1 56 41 is_stmt 1               ; persistent_matmul.py:56:41
	s_or_b32 s0, s1, s51
	.loc	1 58 60                         ; persistent_matmul.py:58:60
	s_wait_kmcnt 0x0
	s_wait_alu depctr_sa_sdst(0)
	v_mad_co_u64_u32 v[203:204], null, s0, s100, v[128:129]
	s_delay_alu instid0(VALU_DEP_1) | instskip(NEXT) | instid1(VALU_DEP_1)
	.loc	1 58 30 is_stmt 0               ; persistent_matmul.py:58:30
	v_ashrrev_i32_e32 v204, 31, v203
	v_lshlrev_b64_e32 v[203:204], 1, v[203:204]
	s_delay_alu instid0(VALU_DEP_1) | instskip(SKIP_1) | instid1(VALU_DEP_2)
	v_add_co_u32 v203, vcc_lo, s30, v203
	s_wait_alu depctr_va_vcc(0)
	v_add_co_ci_u32_e64 v204, null, s31, v204, vcc_lo
	.loc	1 61 24 is_stmt 1               ; persistent_matmul.py:61:24
	global_load_u16 v201, v[203:204], off
	v_dual_mov_b32 v203, 0 :: v_dual_mov_b32 v204, 0
	.loc	1 61 64 is_stmt 0               ; persistent_matmul.py:61:64
	s_cmp_ge_i32 s53, s2
	.loc	1 61 24                         ; persistent_matmul.py:61:24
	s_cbranch_scc1 .LBB0_208
.LBB0_323:                              ;   in Loop: Header=BB0_133 Depth=1
	.loc	1 56 41 is_stmt 1               ; persistent_matmul.py:56:41
	s_or_b32 s0, s1, s53
	.loc	1 58 60                         ; persistent_matmul.py:58:60
	s_wait_kmcnt 0x0
	s_wait_alu depctr_sa_sdst(0)
	v_mad_co_u64_u32 v[204:205], null, s0, s100, v[128:129]
	s_delay_alu instid0(VALU_DEP_1) | instskip(NEXT) | instid1(VALU_DEP_1)
	.loc	1 58 30 is_stmt 0               ; persistent_matmul.py:58:30
	v_ashrrev_i32_e32 v205, 31, v204
	v_lshlrev_b64_e32 v[204:205], 1, v[204:205]
	s_delay_alu instid0(VALU_DEP_1) | instskip(SKIP_1) | instid1(VALU_DEP_2)
	v_add_co_u32 v204, vcc_lo, s30, v204
	s_wait_alu depctr_va_vcc(0)
	v_add_co_ci_u32_e64 v205, null, s31, v205, vcc_lo
	.loc	1 61 24 is_stmt 1               ; persistent_matmul.py:61:24
	global_load_u16 v204, v[204:205], off
	.loc	1 61 64 is_stmt 0               ; persistent_matmul.py:61:64
	s_cmp_ge_i32 s57, s2
	.loc	1 61 24                         ; persistent_matmul.py:61:24
	s_cbranch_scc1 .LBB0_209
.LBB0_324:                              ;   in Loop: Header=BB0_133 Depth=1
	.loc	1 56 41 is_stmt 1               ; persistent_matmul.py:56:41
	s_or_b32 s0, s1, s57
	.loc	1 58 60                         ; persistent_matmul.py:58:60
	s_wait_kmcnt 0x0
	s_wait_alu depctr_sa_sdst(0)
	v_mad_co_u64_u32 v[205:206], null, s0, s100, v[128:129]
	s_delay_alu instid0(VALU_DEP_1) | instskip(NEXT) | instid1(VALU_DEP_1)
	.loc	1 58 30 is_stmt 0               ; persistent_matmul.py:58:30
	v_ashrrev_i32_e32 v206, 31, v205
	v_lshlrev_b64_e32 v[205:206], 1, v[205:206]
	s_delay_alu instid0(VALU_DEP_1) | instskip(SKIP_1) | instid1(VALU_DEP_2)
	v_add_co_u32 v205, vcc_lo, s30, v205
	s_wait_alu depctr_va_vcc(0)
	v_add_co_ci_u32_e64 v206, null, s31, v206, vcc_lo
	.loc	1 61 24 is_stmt 1               ; persistent_matmul.py:61:24
	global_load_u16 v203, v[205:206], off
	v_dual_mov_b32 v205, 0 :: v_dual_mov_b32 v206, 0
	.loc	1 61 64 is_stmt 0               ; persistent_matmul.py:61:64
	s_cmp_ge_i32 s59, s2
	.loc	1 61 24                         ; persistent_matmul.py:61:24
	s_cbranch_scc1 .LBB0_210
.LBB0_325:                              ;   in Loop: Header=BB0_133 Depth=1
	.loc	1 56 41 is_stmt 1               ; persistent_matmul.py:56:41
	s_or_b32 s0, s1, s59
	.loc	1 58 60                         ; persistent_matmul.py:58:60
	s_wait_kmcnt 0x0
	s_wait_alu depctr_sa_sdst(0)
	v_mad_co_u64_u32 v[206:207], null, s0, s100, v[128:129]
	s_delay_alu instid0(VALU_DEP_1) | instskip(NEXT) | instid1(VALU_DEP_1)
	.loc	1 58 30 is_stmt 0               ; persistent_matmul.py:58:30
	v_ashrrev_i32_e32 v207, 31, v206
	v_lshlrev_b64_e32 v[206:207], 1, v[206:207]
	s_delay_alu instid0(VALU_DEP_1) | instskip(SKIP_1) | instid1(VALU_DEP_2)
	v_add_co_u32 v206, vcc_lo, s30, v206
	s_wait_alu depctr_va_vcc(0)
	v_add_co_ci_u32_e64 v207, null, s31, v207, vcc_lo
	.loc	1 61 24 is_stmt 1               ; persistent_matmul.py:61:24
	global_load_u16 v206, v[206:207], off
	.loc	1 61 64 is_stmt 0               ; persistent_matmul.py:61:64
	s_cmp_ge_i32 s62, s2
	.loc	1 61 24                         ; persistent_matmul.py:61:24
	s_cbranch_scc1 .LBB0_211
.LBB0_326:                              ;   in Loop: Header=BB0_133 Depth=1
	.loc	1 56 41 is_stmt 1               ; persistent_matmul.py:56:41
	s_or_b32 s0, s1, s62
	.loc	1 58 60                         ; persistent_matmul.py:58:60
	s_wait_kmcnt 0x0
	s_wait_alu depctr_sa_sdst(0)
	v_mad_co_u64_u32 v[207:208], null, s0, s100, v[128:129]
	s_delay_alu instid0(VALU_DEP_1) | instskip(NEXT) | instid1(VALU_DEP_1)
	.loc	1 58 30 is_stmt 0               ; persistent_matmul.py:58:30
	v_ashrrev_i32_e32 v208, 31, v207
	v_lshlrev_b64_e32 v[207:208], 1, v[207:208]
	s_delay_alu instid0(VALU_DEP_1) | instskip(SKIP_1) | instid1(VALU_DEP_2)
	v_add_co_u32 v207, vcc_lo, s30, v207
	s_wait_alu depctr_va_vcc(0)
	v_add_co_ci_u32_e64 v208, null, s31, v208, vcc_lo
	.loc	1 61 24 is_stmt 1               ; persistent_matmul.py:61:24
	global_load_u16 v205, v[207:208], off
	v_dual_mov_b32 v207, 0 :: v_dual_mov_b32 v208, 0
	.loc	1 61 64 is_stmt 0               ; persistent_matmul.py:61:64
	s_cmp_ge_i32 s64, s2
	.loc	1 61 24                         ; persistent_matmul.py:61:24
	s_cbranch_scc1 .LBB0_212
.LBB0_327:                              ;   in Loop: Header=BB0_133 Depth=1
	.loc	1 56 41 is_stmt 1               ; persistent_matmul.py:56:41
	s_or_b32 s0, s1, s64
	.loc	1 58 60                         ; persistent_matmul.py:58:60
	s_wait_kmcnt 0x0
	s_wait_alu depctr_sa_sdst(0)
	v_mad_co_u64_u32 v[208:209], null, s0, s100, v[128:129]
	s_delay_alu instid0(VALU_DEP_1) | instskip(NEXT) | instid1(VALU_DEP_1)
	.loc	1 58 30 is_stmt 0               ; persistent_matmul.py:58:30
	v_ashrrev_i32_e32 v209, 31, v208
	v_lshlrev_b64_e32 v[208:209], 1, v[208:209]
	s_delay_alu instid0(VALU_DEP_1) | instskip(SKIP_1) | instid1(VALU_DEP_2)
	v_add_co_u32 v208, vcc_lo, s30, v208
	s_wait_alu depctr_va_vcc(0)
	v_add_co_ci_u32_e64 v209, null, s31, v209, vcc_lo
	.loc	1 61 24 is_stmt 1               ; persistent_matmul.py:61:24
	global_load_u16 v208, v[208:209], off
	.loc	1 61 64 is_stmt 0               ; persistent_matmul.py:61:64
	s_cmp_ge_i32 s66, s2
	.loc	1 61 24                         ; persistent_matmul.py:61:24
	s_cbranch_scc1 .LBB0_213
.LBB0_328:                              ;   in Loop: Header=BB0_133 Depth=1
	.loc	1 56 41 is_stmt 1               ; persistent_matmul.py:56:41
	s_or_b32 s0, s1, s66
	.loc	1 58 60                         ; persistent_matmul.py:58:60
	s_wait_kmcnt 0x0
	s_wait_alu depctr_sa_sdst(0)
	v_mad_co_u64_u32 v[209:210], null, s0, s100, v[128:129]
	s_delay_alu instid0(VALU_DEP_1) | instskip(NEXT) | instid1(VALU_DEP_1)
	.loc	1 58 30 is_stmt 0               ; persistent_matmul.py:58:30
	v_ashrrev_i32_e32 v210, 31, v209
	v_lshlrev_b64_e32 v[209:210], 1, v[209:210]
	s_delay_alu instid0(VALU_DEP_1) | instskip(SKIP_1) | instid1(VALU_DEP_2)
	v_add_co_u32 v209, vcc_lo, s30, v209
	s_wait_alu depctr_va_vcc(0)
	v_add_co_ci_u32_e64 v210, null, s31, v210, vcc_lo
	.loc	1 61 24 is_stmt 1               ; persistent_matmul.py:61:24
	global_load_u16 v207, v[209:210], off
	v_dual_mov_b32 v209, 0 :: v_dual_mov_b32 v210, 0
	.loc	1 61 64 is_stmt 0               ; persistent_matmul.py:61:64
	s_cmp_ge_i32 s68, s2
	.loc	1 61 24                         ; persistent_matmul.py:61:24
	s_cbranch_scc1 .LBB0_214
.LBB0_329:                              ;   in Loop: Header=BB0_133 Depth=1
	.loc	1 56 41 is_stmt 1               ; persistent_matmul.py:56:41
	s_or_b32 s0, s1, s68
	.loc	1 58 60                         ; persistent_matmul.py:58:60
	s_wait_kmcnt 0x0
	s_wait_alu depctr_sa_sdst(0)
	v_mad_co_u64_u32 v[210:211], null, s0, s100, v[128:129]
	s_delay_alu instid0(VALU_DEP_1) | instskip(NEXT) | instid1(VALU_DEP_1)
	.loc	1 58 30 is_stmt 0               ; persistent_matmul.py:58:30
	v_ashrrev_i32_e32 v211, 31, v210
	v_lshlrev_b64_e32 v[210:211], 1, v[210:211]
	s_delay_alu instid0(VALU_DEP_1) | instskip(SKIP_1) | instid1(VALU_DEP_2)
	v_add_co_u32 v210, vcc_lo, s30, v210
	s_wait_alu depctr_va_vcc(0)
	v_add_co_ci_u32_e64 v211, null, s31, v211, vcc_lo
	.loc	1 61 24 is_stmt 1               ; persistent_matmul.py:61:24
	global_load_u16 v210, v[210:211], off
	.loc	1 61 64 is_stmt 0               ; persistent_matmul.py:61:64
	s_cmp_ge_i32 s70, s2
	.loc	1 61 24                         ; persistent_matmul.py:61:24
	s_cbranch_scc1 .LBB0_215
.LBB0_330:                              ;   in Loop: Header=BB0_133 Depth=1
	.loc	1 56 41 is_stmt 1               ; persistent_matmul.py:56:41
	s_or_b32 s0, s1, s70
	.loc	1 58 60                         ; persistent_matmul.py:58:60
	s_wait_kmcnt 0x0
	s_wait_alu depctr_sa_sdst(0)
	v_mad_co_u64_u32 v[211:212], null, s0, s100, v[128:129]
	s_delay_alu instid0(VALU_DEP_1) | instskip(NEXT) | instid1(VALU_DEP_1)
	.loc	1 58 30 is_stmt 0               ; persistent_matmul.py:58:30
	v_ashrrev_i32_e32 v212, 31, v211
	v_lshlrev_b64_e32 v[211:212], 1, v[211:212]
	s_delay_alu instid0(VALU_DEP_1) | instskip(SKIP_1) | instid1(VALU_DEP_2)
	v_add_co_u32 v211, vcc_lo, s30, v211
	s_wait_alu depctr_va_vcc(0)
	v_add_co_ci_u32_e64 v212, null, s31, v212, vcc_lo
	.loc	1 61 24 is_stmt 1               ; persistent_matmul.py:61:24
	global_load_u16 v209, v[211:212], off
	v_dual_mov_b32 v211, 0 :: v_dual_mov_b32 v212, 0
	.loc	1 61 64 is_stmt 0               ; persistent_matmul.py:61:64
	s_cmp_ge_i32 s72, s2
	.loc	1 61 24                         ; persistent_matmul.py:61:24
	s_cbranch_scc1 .LBB0_216
.LBB0_331:                              ;   in Loop: Header=BB0_133 Depth=1
	.loc	1 56 41 is_stmt 1               ; persistent_matmul.py:56:41
	s_or_b32 s0, s1, s72
	.loc	1 58 60                         ; persistent_matmul.py:58:60
	s_wait_kmcnt 0x0
	s_wait_alu depctr_sa_sdst(0)
	v_mad_co_u64_u32 v[212:213], null, s0, s100, v[128:129]
	s_delay_alu instid0(VALU_DEP_1) | instskip(NEXT) | instid1(VALU_DEP_1)
	.loc	1 58 30 is_stmt 0               ; persistent_matmul.py:58:30
	v_ashrrev_i32_e32 v213, 31, v212
	v_lshlrev_b64_e32 v[212:213], 1, v[212:213]
	s_delay_alu instid0(VALU_DEP_1) | instskip(SKIP_1) | instid1(VALU_DEP_2)
	v_add_co_u32 v212, vcc_lo, s30, v212
	s_wait_alu depctr_va_vcc(0)
	v_add_co_ci_u32_e64 v213, null, s31, v213, vcc_lo
	.loc	1 61 24 is_stmt 1               ; persistent_matmul.py:61:24
	global_load_u16 v212, v[212:213], off
	.loc	1 61 64 is_stmt 0               ; persistent_matmul.py:61:64
	s_cmp_ge_i32 s74, s2
	.loc	1 61 24                         ; persistent_matmul.py:61:24
	s_cbranch_scc1 .LBB0_217
.LBB0_332:                              ;   in Loop: Header=BB0_133 Depth=1
	.loc	1 56 41 is_stmt 1               ; persistent_matmul.py:56:41
	s_or_b32 s0, s1, s74
	.loc	1 58 60                         ; persistent_matmul.py:58:60
	s_wait_kmcnt 0x0
	s_wait_alu depctr_sa_sdst(0)
	v_mad_co_u64_u32 v[213:214], null, s0, s100, v[128:129]
	s_delay_alu instid0(VALU_DEP_1) | instskip(NEXT) | instid1(VALU_DEP_1)
	.loc	1 58 30 is_stmt 0               ; persistent_matmul.py:58:30
	v_ashrrev_i32_e32 v214, 31, v213
	v_lshlrev_b64_e32 v[213:214], 1, v[213:214]
	s_delay_alu instid0(VALU_DEP_1) | instskip(SKIP_1) | instid1(VALU_DEP_2)
	v_add_co_u32 v213, vcc_lo, s30, v213
	s_wait_alu depctr_va_vcc(0)
	v_add_co_ci_u32_e64 v214, null, s31, v214, vcc_lo
	.loc	1 61 24 is_stmt 1               ; persistent_matmul.py:61:24
	global_load_u16 v211, v[213:214], off
	v_dual_mov_b32 v213, 0 :: v_dual_mov_b32 v214, 0
	.loc	1 61 64 is_stmt 0               ; persistent_matmul.py:61:64
	s_cmp_ge_i32 s76, s2
	.loc	1 61 24                         ; persistent_matmul.py:61:24
	s_cbranch_scc1 .LBB0_218
.LBB0_333:                              ;   in Loop: Header=BB0_133 Depth=1
	.loc	1 56 41 is_stmt 1               ; persistent_matmul.py:56:41
	s_or_b32 s0, s1, s76
	.loc	1 58 60                         ; persistent_matmul.py:58:60
	s_wait_kmcnt 0x0
	s_wait_alu depctr_sa_sdst(0)
	v_mad_co_u64_u32 v[214:215], null, s0, s100, v[128:129]
	s_delay_alu instid0(VALU_DEP_1) | instskip(NEXT) | instid1(VALU_DEP_1)
	.loc	1 58 30 is_stmt 0               ; persistent_matmul.py:58:30
	v_ashrrev_i32_e32 v215, 31, v214
	v_lshlrev_b64_e32 v[214:215], 1, v[214:215]
	s_delay_alu instid0(VALU_DEP_1) | instskip(SKIP_1) | instid1(VALU_DEP_2)
	v_add_co_u32 v214, vcc_lo, s30, v214
	s_wait_alu depctr_va_vcc(0)
	v_add_co_ci_u32_e64 v215, null, s31, v215, vcc_lo
	.loc	1 61 24 is_stmt 1               ; persistent_matmul.py:61:24
	global_load_u16 v214, v[214:215], off
	.loc	1 61 64 is_stmt 0               ; persistent_matmul.py:61:64
	s_cmp_ge_i32 s78, s2
	.loc	1 61 24                         ; persistent_matmul.py:61:24
	s_cbranch_scc1 .LBB0_219
.LBB0_334:                              ;   in Loop: Header=BB0_133 Depth=1
	.loc	1 56 41 is_stmt 1               ; persistent_matmul.py:56:41
	s_or_b32 s0, s1, s78
	.loc	1 58 60                         ; persistent_matmul.py:58:60
	s_wait_kmcnt 0x0
	s_wait_alu depctr_sa_sdst(0)
	v_mad_co_u64_u32 v[215:216], null, s0, s100, v[128:129]
	s_delay_alu instid0(VALU_DEP_1) | instskip(NEXT) | instid1(VALU_DEP_1)
	.loc	1 58 30 is_stmt 0               ; persistent_matmul.py:58:30
	v_ashrrev_i32_e32 v216, 31, v215
	v_lshlrev_b64_e32 v[215:216], 1, v[215:216]
	s_delay_alu instid0(VALU_DEP_1) | instskip(SKIP_1) | instid1(VALU_DEP_2)
	v_add_co_u32 v215, vcc_lo, s30, v215
	s_wait_alu depctr_va_vcc(0)
	v_add_co_ci_u32_e64 v216, null, s31, v216, vcc_lo
	.loc	1 61 24 is_stmt 1               ; persistent_matmul.py:61:24
	global_load_u16 v213, v[215:216], off
	v_dual_mov_b32 v215, 0 :: v_dual_mov_b32 v216, 0
	.loc	1 61 64 is_stmt 0               ; persistent_matmul.py:61:64
	s_cmp_ge_i32 s80, s2
	.loc	1 61 24                         ; persistent_matmul.py:61:24
	s_cbranch_scc1 .LBB0_220
.LBB0_335:                              ;   in Loop: Header=BB0_133 Depth=1
	.loc	1 56 41 is_stmt 1               ; persistent_matmul.py:56:41
	s_or_b32 s0, s1, s80
	.loc	1 58 60                         ; persistent_matmul.py:58:60
	s_wait_kmcnt 0x0
	s_wait_alu depctr_sa_sdst(0)
	v_mad_co_u64_u32 v[216:217], null, s0, s100, v[128:129]
	s_delay_alu instid0(VALU_DEP_1) | instskip(NEXT) | instid1(VALU_DEP_1)
	.loc	1 58 30 is_stmt 0               ; persistent_matmul.py:58:30
	v_ashrrev_i32_e32 v217, 31, v216
	v_lshlrev_b64_e32 v[216:217], 1, v[216:217]
	s_delay_alu instid0(VALU_DEP_1) | instskip(SKIP_1) | instid1(VALU_DEP_2)
	v_add_co_u32 v216, vcc_lo, s30, v216
	s_wait_alu depctr_va_vcc(0)
	v_add_co_ci_u32_e64 v217, null, s31, v217, vcc_lo
	.loc	1 61 24 is_stmt 1               ; persistent_matmul.py:61:24
	global_load_u16 v216, v[216:217], off
	.loc	1 61 64 is_stmt 0               ; persistent_matmul.py:61:64
	s_cmp_ge_i32 s82, s2
	.loc	1 61 24                         ; persistent_matmul.py:61:24
	s_cbranch_scc1 .LBB0_221
.LBB0_336:                              ;   in Loop: Header=BB0_133 Depth=1
	.loc	1 56 41 is_stmt 1               ; persistent_matmul.py:56:41
	s_or_b32 s0, s1, s82
	.loc	1 58 60                         ; persistent_matmul.py:58:60
	s_wait_kmcnt 0x0
	s_wait_alu depctr_sa_sdst(0)
	v_mad_co_u64_u32 v[217:218], null, s0, s100, v[128:129]
	s_delay_alu instid0(VALU_DEP_1) | instskip(NEXT) | instid1(VALU_DEP_1)
	.loc	1 58 30 is_stmt 0               ; persistent_matmul.py:58:30
	v_ashrrev_i32_e32 v218, 31, v217
	v_lshlrev_b64_e32 v[217:218], 1, v[217:218]
	s_delay_alu instid0(VALU_DEP_1) | instskip(SKIP_1) | instid1(VALU_DEP_2)
	v_add_co_u32 v217, vcc_lo, s30, v217
	s_wait_alu depctr_va_vcc(0)
	v_add_co_ci_u32_e64 v218, null, s31, v218, vcc_lo
	.loc	1 61 24 is_stmt 1               ; persistent_matmul.py:61:24
	global_load_u16 v215, v[217:218], off
	v_dual_mov_b32 v217, 0 :: v_dual_mov_b32 v218, 0
	.loc	1 61 64 is_stmt 0               ; persistent_matmul.py:61:64
	s_cmp_ge_i32 s84, s2
	.loc	1 61 24                         ; persistent_matmul.py:61:24
	s_cbranch_scc1 .LBB0_222
.LBB0_337:                              ;   in Loop: Header=BB0_133 Depth=1
	.loc	1 56 41 is_stmt 1               ; persistent_matmul.py:56:41
	s_or_b32 s0, s1, s84
	.loc	1 58 60                         ; persistent_matmul.py:58:60
	s_wait_kmcnt 0x0
	s_wait_alu depctr_sa_sdst(0)
	v_mad_co_u64_u32 v[218:219], null, s0, s100, v[128:129]
	s_delay_alu instid0(VALU_DEP_1) | instskip(NEXT) | instid1(VALU_DEP_1)
	.loc	1 58 30 is_stmt 0               ; persistent_matmul.py:58:30
	v_ashrrev_i32_e32 v219, 31, v218
	v_lshlrev_b64_e32 v[218:219], 1, v[218:219]
	s_delay_alu instid0(VALU_DEP_1) | instskip(SKIP_1) | instid1(VALU_DEP_2)
	v_add_co_u32 v218, vcc_lo, s30, v218
	s_wait_alu depctr_va_vcc(0)
	v_add_co_ci_u32_e64 v219, null, s31, v219, vcc_lo
	.loc	1 61 24 is_stmt 1               ; persistent_matmul.py:61:24
	global_load_u16 v218, v[218:219], off
	.loc	1 61 64 is_stmt 0               ; persistent_matmul.py:61:64
	s_cmp_ge_i32 s86, s2
	.loc	1 61 24                         ; persistent_matmul.py:61:24
	s_cbranch_scc1 .LBB0_223
.LBB0_338:                              ;   in Loop: Header=BB0_133 Depth=1
	.loc	1 56 41 is_stmt 1               ; persistent_matmul.py:56:41
	s_or_b32 s0, s1, s86
	.loc	1 58 60                         ; persistent_matmul.py:58:60
	s_wait_kmcnt 0x0
	s_wait_alu depctr_sa_sdst(0)
	v_mad_co_u64_u32 v[219:220], null, s0, s100, v[128:129]
	s_delay_alu instid0(VALU_DEP_1) | instskip(NEXT) | instid1(VALU_DEP_1)
	.loc	1 58 30 is_stmt 0               ; persistent_matmul.py:58:30
	v_ashrrev_i32_e32 v220, 31, v219
	v_lshlrev_b64_e32 v[219:220], 1, v[219:220]
	s_delay_alu instid0(VALU_DEP_1) | instskip(SKIP_1) | instid1(VALU_DEP_2)
	v_add_co_u32 v219, vcc_lo, s30, v219
	s_wait_alu depctr_va_vcc(0)
	v_add_co_ci_u32_e64 v220, null, s31, v220, vcc_lo
	.loc	1 61 24 is_stmt 1               ; persistent_matmul.py:61:24
	global_load_u16 v217, v[219:220], off
	v_dual_mov_b32 v219, 0 :: v_dual_mov_b32 v220, 0
	.loc	1 61 64 is_stmt 0               ; persistent_matmul.py:61:64
	s_cmp_ge_i32 s88, s2
	.loc	1 61 24                         ; persistent_matmul.py:61:24
	s_cbranch_scc1 .LBB0_224
.LBB0_339:                              ;   in Loop: Header=BB0_133 Depth=1
	.loc	1 56 41 is_stmt 1               ; persistent_matmul.py:56:41
	s_or_b32 s0, s1, s88
	.loc	1 58 60                         ; persistent_matmul.py:58:60
	s_wait_kmcnt 0x0
	s_wait_alu depctr_sa_sdst(0)
	v_mad_co_u64_u32 v[220:221], null, s0, s100, v[128:129]
	s_delay_alu instid0(VALU_DEP_1) | instskip(NEXT) | instid1(VALU_DEP_1)
	.loc	1 58 30 is_stmt 0               ; persistent_matmul.py:58:30
	v_ashrrev_i32_e32 v221, 31, v220
	v_lshlrev_b64_e32 v[220:221], 1, v[220:221]
	s_delay_alu instid0(VALU_DEP_1) | instskip(SKIP_1) | instid1(VALU_DEP_2)
	v_add_co_u32 v220, vcc_lo, s30, v220
	s_wait_alu depctr_va_vcc(0)
	v_add_co_ci_u32_e64 v221, null, s31, v221, vcc_lo
	.loc	1 61 24 is_stmt 1               ; persistent_matmul.py:61:24
	global_load_u16 v220, v[220:221], off
	.loc	1 61 64 is_stmt 0               ; persistent_matmul.py:61:64
	s_cmp_ge_i32 s90, s2
	.loc	1 61 24                         ; persistent_matmul.py:61:24
	s_cbranch_scc1 .LBB0_225
.LBB0_340:                              ;   in Loop: Header=BB0_133 Depth=1
	.loc	1 56 41 is_stmt 1               ; persistent_matmul.py:56:41
	s_or_b32 s0, s1, s90
	.loc	1 58 60                         ; persistent_matmul.py:58:60
	s_wait_kmcnt 0x0
	s_wait_alu depctr_sa_sdst(0)
	v_mad_co_u64_u32 v[221:222], null, s0, s100, v[128:129]
	s_delay_alu instid0(VALU_DEP_1) | instskip(NEXT) | instid1(VALU_DEP_1)
	.loc	1 58 30 is_stmt 0               ; persistent_matmul.py:58:30
	v_ashrrev_i32_e32 v222, 31, v221
	v_lshlrev_b64_e32 v[221:222], 1, v[221:222]
	s_delay_alu instid0(VALU_DEP_1) | instskip(SKIP_1) | instid1(VALU_DEP_2)
	v_add_co_u32 v221, vcc_lo, s30, v221
	s_wait_alu depctr_va_vcc(0)
	v_add_co_ci_u32_e64 v222, null, s31, v222, vcc_lo
	.loc	1 61 24 is_stmt 1               ; persistent_matmul.py:61:24
	global_load_u16 v219, v[221:222], off
	v_dual_mov_b32 v221, 0 :: v_dual_mov_b32 v222, 0
	.loc	1 61 64 is_stmt 0               ; persistent_matmul.py:61:64
	s_cmp_ge_i32 s92, s2
	.loc	1 61 24                         ; persistent_matmul.py:61:24
	s_cbranch_scc1 .LBB0_226
.LBB0_341:                              ;   in Loop: Header=BB0_133 Depth=1
	.loc	1 56 41 is_stmt 1               ; persistent_matmul.py:56:41
	s_or_b32 s0, s1, s92
	.loc	1 58 60                         ; persistent_matmul.py:58:60
	s_wait_kmcnt 0x0
	s_wait_alu depctr_sa_sdst(0)
	v_mad_co_u64_u32 v[222:223], null, s0, s100, v[128:129]
	s_delay_alu instid0(VALU_DEP_1) | instskip(NEXT) | instid1(VALU_DEP_1)
	.loc	1 58 30 is_stmt 0               ; persistent_matmul.py:58:30
	v_ashrrev_i32_e32 v223, 31, v222
	v_lshlrev_b64_e32 v[222:223], 1, v[222:223]
	s_delay_alu instid0(VALU_DEP_1) | instskip(SKIP_1) | instid1(VALU_DEP_2)
	v_add_co_u32 v222, vcc_lo, s30, v222
	s_wait_alu depctr_va_vcc(0)
	v_add_co_ci_u32_e64 v223, null, s31, v223, vcc_lo
	.loc	1 61 24 is_stmt 1               ; persistent_matmul.py:61:24
	global_load_u16 v222, v[222:223], off
	.loc	1 61 64 is_stmt 0               ; persistent_matmul.py:61:64
	s_cmp_ge_i32 s94, s2
	.loc	1 61 24                         ; persistent_matmul.py:61:24
	s_cbranch_scc1 .LBB0_227
.LBB0_342:                              ;   in Loop: Header=BB0_133 Depth=1
	.loc	1 56 41 is_stmt 1               ; persistent_matmul.py:56:41
	s_or_b32 s0, s1, s94
	.loc	1 58 60                         ; persistent_matmul.py:58:60
	s_wait_kmcnt 0x0
	s_wait_alu depctr_sa_sdst(0)
	v_mad_co_u64_u32 v[223:224], null, s0, s100, v[128:129]
	s_delay_alu instid0(VALU_DEP_1) | instskip(NEXT) | instid1(VALU_DEP_1)
	.loc	1 58 30 is_stmt 0               ; persistent_matmul.py:58:30
	v_ashrrev_i32_e32 v224, 31, v223
	v_lshlrev_b64_e32 v[223:224], 1, v[223:224]
	s_delay_alu instid0(VALU_DEP_1) | instskip(SKIP_1) | instid1(VALU_DEP_2)
	v_add_co_u32 v223, vcc_lo, s30, v223
	s_wait_alu depctr_va_vcc(0)
	v_add_co_ci_u32_e64 v224, null, s31, v224, vcc_lo
	.loc	1 61 24 is_stmt 1               ; persistent_matmul.py:61:24
	global_load_u16 v221, v[223:224], off
	v_dual_mov_b32 v223, 0 :: v_dual_mov_b32 v224, 0
	.loc	1 61 64 is_stmt 0               ; persistent_matmul.py:61:64
	s_cmp_ge_i32 s96, s2
	.loc	1 61 24                         ; persistent_matmul.py:61:24
	s_cbranch_scc1 .LBB0_228
.LBB0_343:                              ;   in Loop: Header=BB0_133 Depth=1
	.loc	1 56 41 is_stmt 1               ; persistent_matmul.py:56:41
	s_or_b32 s0, s1, s96
	.loc	1 58 60                         ; persistent_matmul.py:58:60
	s_wait_kmcnt 0x0
	s_wait_alu depctr_sa_sdst(0)
	v_mad_co_u64_u32 v[224:225], null, s0, s100, v[128:129]
	s_delay_alu instid0(VALU_DEP_1) | instskip(NEXT) | instid1(VALU_DEP_1)
	.loc	1 58 30 is_stmt 0               ; persistent_matmul.py:58:30
	v_ashrrev_i32_e32 v225, 31, v224
	v_lshlrev_b64_e32 v[224:225], 1, v[224:225]
	s_delay_alu instid0(VALU_DEP_1) | instskip(SKIP_1) | instid1(VALU_DEP_2)
	v_add_co_u32 v224, vcc_lo, s30, v224
	s_wait_alu depctr_va_vcc(0)
	v_add_co_ci_u32_e64 v225, null, s31, v225, vcc_lo
	.loc	1 61 24 is_stmt 1               ; persistent_matmul.py:61:24
	global_load_u16 v224, v[224:225], off
	.loc	1 61 64 is_stmt 0               ; persistent_matmul.py:61:64
	s_cmp_ge_i32 s97, s2
	.loc	1 61 24                         ; persistent_matmul.py:61:24
	s_cbranch_scc1 .LBB0_229
.LBB0_344:                              ;   in Loop: Header=BB0_133 Depth=1
	.loc	1 56 41 is_stmt 1               ; persistent_matmul.py:56:41
	s_or_b32 s0, s1, s97
	.loc	1 58 60                         ; persistent_matmul.py:58:60
	s_wait_kmcnt 0x0
	s_wait_alu depctr_sa_sdst(0)
	v_mad_co_u64_u32 v[225:226], null, s0, s100, v[128:129]
	s_delay_alu instid0(VALU_DEP_1) | instskip(NEXT) | instid1(VALU_DEP_1)
	.loc	1 58 30 is_stmt 0               ; persistent_matmul.py:58:30
	v_ashrrev_i32_e32 v226, 31, v225
	v_lshlrev_b64_e32 v[225:226], 1, v[225:226]
	s_delay_alu instid0(VALU_DEP_1) | instskip(SKIP_1) | instid1(VALU_DEP_2)
	v_add_co_u32 v225, vcc_lo, s30, v225
	s_wait_alu depctr_va_vcc(0)
	v_add_co_ci_u32_e64 v226, null, s31, v226, vcc_lo
	.loc	1 61 24 is_stmt 1               ; persistent_matmul.py:61:24
	global_load_u16 v223, v[225:226], off
	v_dual_mov_b32 v225, 0 :: v_dual_mov_b32 v226, 0
	.loc	1 61 64 is_stmt 0               ; persistent_matmul.py:61:64
	s_cmp_ge_i32 s34, s2
	.loc	1 61 24                         ; persistent_matmul.py:61:24
	s_cbranch_scc1 .LBB0_230
.LBB0_345:                              ;   in Loop: Header=BB0_133 Depth=1
	.loc	1 56 41 is_stmt 1               ; persistent_matmul.py:56:41
	s_or_b32 s0, s1, s34
	.loc	1 58 60                         ; persistent_matmul.py:58:60
	s_wait_kmcnt 0x0
	s_wait_alu depctr_sa_sdst(0)
	v_mad_co_u64_u32 v[226:227], null, s0, s100, v[128:129]
	s_delay_alu instid0(VALU_DEP_1) | instskip(NEXT) | instid1(VALU_DEP_1)
	.loc	1 58 30 is_stmt 0               ; persistent_matmul.py:58:30
	v_ashrrev_i32_e32 v227, 31, v226
	v_lshlrev_b64_e32 v[226:227], 1, v[226:227]
	s_delay_alu instid0(VALU_DEP_1) | instskip(SKIP_1) | instid1(VALU_DEP_2)
	v_add_co_u32 v226, vcc_lo, s30, v226
	s_wait_alu depctr_va_vcc(0)
	v_add_co_ci_u32_e64 v227, null, s31, v227, vcc_lo
	.loc	1 61 24 is_stmt 1               ; persistent_matmul.py:61:24
	global_load_u16 v226, v[226:227], off
	.loc	1 61 64 is_stmt 0               ; persistent_matmul.py:61:64
	s_cmp_ge_i32 s37, s2
	.loc	1 61 24                         ; persistent_matmul.py:61:24
	s_cbranch_scc0 .LBB0_231
	s_branch .LBB0_232
.LBB0_346:                              ;   in Loop: Header=BB0_133 Depth=1
	.loc	1 68 56 is_stmt 1               ; persistent_matmul.py:68:56
	v_add_co_u32 v98, s16, v96, v64
	s_wait_alu depctr_va_sdst(0)
	v_add_co_ci_u32_e64 v99, null, v97, v65, s16
	.loc	1 73 31                         ; persistent_matmul.py:73:31
	v_cvt_f16_f32_e32 v100, v40
	.loc	1 74 25                         ; persistent_matmul.py:74:25
	global_store_b16 v[98:99], v100, off
	s_wait_alu depctr_sa_sdst(0)
	s_or_b32 exec_lo, exec_lo, s58
	.loc	1 69 43                         ; persistent_matmul.py:69:43
	s_and_b32 s16, s15, s0
	.loc	1 74 25                         ; persistent_matmul.py:74:25
	s_wait_alu depctr_sa_sdst(0)
	s_and_saveexec_b32 s58, s16
	s_cbranch_execz .LBB0_267
.LBB0_347:                              ;   in Loop: Header=BB0_133 Depth=1
	.loc	1 68 56                         ; persistent_matmul.py:68:56
	v_add_co_u32 v98, s16, v96, v66
	s_wait_alu depctr_va_sdst(0)
	v_add_co_ci_u32_e64 v99, null, v97, v67, s16
	.loc	1 73 31                         ; persistent_matmul.py:73:31
	v_cvt_f16_f32_e32 v100, v41
	.loc	1 74 25                         ; persistent_matmul.py:74:25
	global_store_b16 v[98:99], v100, off
	s_wait_alu depctr_sa_sdst(0)
	s_or_b32 exec_lo, exec_lo, s58
	.loc	1 69 43                         ; persistent_matmul.py:69:43
	s_and_b32 s16, s15, s1
	.loc	1 74 25                         ; persistent_matmul.py:74:25
	s_wait_alu depctr_sa_sdst(0)
	s_and_saveexec_b32 s58, s16
	s_cbranch_execz .LBB0_268
.LBB0_348:                              ;   in Loop: Header=BB0_133 Depth=1
	.loc	1 68 56                         ; persistent_matmul.py:68:56
	v_add_co_u32 v98, s16, v96, v68
	s_wait_alu depctr_va_sdst(0)
	v_add_co_ci_u32_e64 v99, null, v97, v69, s16
	.loc	1 73 31                         ; persistent_matmul.py:73:31
	v_cvt_f16_f32_e32 v100, v42
	.loc	1 74 25                         ; persistent_matmul.py:74:25
	global_store_b16 v[98:99], v100, off
	s_wait_alu depctr_sa_sdst(0)
	s_or_b32 exec_lo, exec_lo, s58
	.loc	1 69 43                         ; persistent_matmul.py:69:43
	s_and_b32 s16, s15, s2
	.loc	1 74 25                         ; persistent_matmul.py:74:25
	s_wait_alu depctr_sa_sdst(0)
	s_and_saveexec_b32 s58, s16
	s_cbranch_execz .LBB0_269
.LBB0_349:                              ;   in Loop: Header=BB0_133 Depth=1
	.loc	1 68 56                         ; persistent_matmul.py:68:56
	v_add_co_u32 v98, s16, v96, v70
	s_wait_alu depctr_va_sdst(0)
	v_add_co_ci_u32_e64 v99, null, v97, v71, s16
	.loc	1 73 31                         ; persistent_matmul.py:73:31
	v_cvt_f16_f32_e32 v100, v43
	.loc	1 74 25                         ; persistent_matmul.py:74:25
	global_store_b16 v[98:99], v100, off
	s_wait_alu depctr_sa_sdst(0)
	s_or_b32 exec_lo, exec_lo, s58
	.loc	1 69 43                         ; persistent_matmul.py:69:43
	s_and_b32 s16, s15, s3
	.loc	1 74 25                         ; persistent_matmul.py:74:25
	s_wait_alu depctr_sa_sdst(0)
	s_and_saveexec_b32 s58, s16
	s_cbranch_execz .LBB0_270
.LBB0_350:                              ;   in Loop: Header=BB0_133 Depth=1
	.loc	1 68 56                         ; persistent_matmul.py:68:56
	v_add_co_u32 v98, s16, v96, v72
	s_wait_alu depctr_va_sdst(0)
	v_add_co_ci_u32_e64 v99, null, v97, v73, s16
	.loc	1 73 31                         ; persistent_matmul.py:73:31
	v_cvt_f16_f32_e32 v100, v44
	.loc	1 74 25                         ; persistent_matmul.py:74:25
	global_store_b16 v[98:99], v100, off
	s_wait_alu depctr_sa_sdst(0)
	s_or_b32 exec_lo, exec_lo, s58
	.loc	1 69 43                         ; persistent_matmul.py:69:43
	s_and_b32 s16, s15, s4
	.loc	1 74 25                         ; persistent_matmul.py:74:25
	s_wait_alu depctr_sa_sdst(0)
	s_and_saveexec_b32 s58, s16
	s_cbranch_execz .LBB0_271
.LBB0_351:                              ;   in Loop: Header=BB0_133 Depth=1
	.loc	1 68 56                         ; persistent_matmul.py:68:56
	v_add_co_u32 v98, s16, v96, v74
	s_wait_alu depctr_va_sdst(0)
	v_add_co_ci_u32_e64 v99, null, v97, v75, s16
	.loc	1 73 31                         ; persistent_matmul.py:73:31
	v_cvt_f16_f32_e32 v100, v45
	.loc	1 74 25                         ; persistent_matmul.py:74:25
	global_store_b16 v[98:99], v100, off
	s_wait_alu depctr_sa_sdst(0)
	s_or_b32 exec_lo, exec_lo, s58
	.loc	1 69 43                         ; persistent_matmul.py:69:43
	s_and_b32 s16, s15, s5
	.loc	1 74 25                         ; persistent_matmul.py:74:25
	s_wait_alu depctr_sa_sdst(0)
	s_and_saveexec_b32 s58, s16
	s_cbranch_execz .LBB0_272
.LBB0_352:                              ;   in Loop: Header=BB0_133 Depth=1
	.loc	1 68 56                         ; persistent_matmul.py:68:56
	v_add_co_u32 v98, s16, v96, v76
	s_wait_alu depctr_va_sdst(0)
	v_add_co_ci_u32_e64 v99, null, v97, v77, s16
	.loc	1 73 31                         ; persistent_matmul.py:73:31
	v_cvt_f16_f32_e32 v100, v46
	.loc	1 74 25                         ; persistent_matmul.py:74:25
	global_store_b16 v[98:99], v100, off
	s_wait_alu depctr_sa_sdst(0)
	s_or_b32 exec_lo, exec_lo, s58
	.loc	1 69 43                         ; persistent_matmul.py:69:43
	s_and_b32 s16, s15, s6
	.loc	1 74 25                         ; persistent_matmul.py:74:25
	s_wait_alu depctr_sa_sdst(0)
	s_and_saveexec_b32 s58, s16
	s_cbranch_execz .LBB0_273
.LBB0_353:                              ;   in Loop: Header=BB0_133 Depth=1
	.loc	1 68 56                         ; persistent_matmul.py:68:56
	v_add_co_u32 v98, s16, v96, v78
	s_wait_alu depctr_va_sdst(0)
	v_add_co_ci_u32_e64 v99, null, v97, v79, s16
	.loc	1 73 31                         ; persistent_matmul.py:73:31
	v_cvt_f16_f32_e32 v100, v47
	.loc	1 74 25                         ; persistent_matmul.py:74:25
	global_store_b16 v[98:99], v100, off
	s_wait_alu depctr_sa_sdst(0)
	s_or_b32 exec_lo, exec_lo, s58
	.loc	1 69 43                         ; persistent_matmul.py:69:43
	s_and_b32 s16, s15, s7
	.loc	1 74 25                         ; persistent_matmul.py:74:25
	s_wait_alu depctr_sa_sdst(0)
	s_and_saveexec_b32 s58, s16
	s_cbranch_execz .LBB0_274
.LBB0_354:                              ;   in Loop: Header=BB0_133 Depth=1
	.loc	1 68 56                         ; persistent_matmul.py:68:56
	v_add_co_u32 v98, s16, v96, v80
	s_wait_alu depctr_va_sdst(0)
	v_add_co_ci_u32_e64 v99, null, v97, v81, s16
	.loc	1 73 31                         ; persistent_matmul.py:73:31
	v_cvt_f16_f32_e32 v100, v32
	.loc	1 74 25                         ; persistent_matmul.py:74:25
	global_store_b16 v[98:99], v100, off
	s_wait_alu depctr_sa_sdst(0)
	s_or_b32 exec_lo, exec_lo, s58
	.loc	1 69 43                         ; persistent_matmul.py:69:43
	s_and_b32 s16, s15, s8
	.loc	1 74 25                         ; persistent_matmul.py:74:25
	s_wait_alu depctr_sa_sdst(0)
	s_and_saveexec_b32 s58, s16
	s_cbranch_execz .LBB0_275
.LBB0_355:                              ;   in Loop: Header=BB0_133 Depth=1
	.loc	1 68 56                         ; persistent_matmul.py:68:56
	v_add_co_u32 v98, s16, v96, v82
	s_wait_alu depctr_va_sdst(0)
	v_add_co_ci_u32_e64 v99, null, v97, v83, s16
	.loc	1 73 31                         ; persistent_matmul.py:73:31
	v_cvt_f16_f32_e32 v100, v33
	.loc	1 74 25                         ; persistent_matmul.py:74:25
	global_store_b16 v[98:99], v100, off
	s_wait_alu depctr_sa_sdst(0)
	s_or_b32 exec_lo, exec_lo, s58
	.loc	1 69 43                         ; persistent_matmul.py:69:43
	s_and_b32 s16, s15, s9
	.loc	1 74 25                         ; persistent_matmul.py:74:25
	s_wait_alu depctr_sa_sdst(0)
	s_and_saveexec_b32 s58, s16
	s_cbranch_execz .LBB0_276
.LBB0_356:                              ;   in Loop: Header=BB0_133 Depth=1
	.loc	1 68 56                         ; persistent_matmul.py:68:56
	v_add_co_u32 v98, s16, v96, v84
	s_wait_alu depctr_va_sdst(0)
	v_add_co_ci_u32_e64 v99, null, v97, v85, s16
	.loc	1 73 31                         ; persistent_matmul.py:73:31
	v_cvt_f16_f32_e32 v100, v34
	.loc	1 74 25                         ; persistent_matmul.py:74:25
	global_store_b16 v[98:99], v100, off
	s_wait_alu depctr_sa_sdst(0)
	s_or_b32 exec_lo, exec_lo, s58
	.loc	1 69 43                         ; persistent_matmul.py:69:43
	s_and_b32 s16, s15, s10
	.loc	1 74 25                         ; persistent_matmul.py:74:25
	s_wait_alu depctr_sa_sdst(0)
	s_and_saveexec_b32 s58, s16
	s_cbranch_execz .LBB0_277
.LBB0_357:                              ;   in Loop: Header=BB0_133 Depth=1
	.loc	1 68 56                         ; persistent_matmul.py:68:56
	v_add_co_u32 v98, s16, v96, v86
	s_wait_alu depctr_va_sdst(0)
	v_add_co_ci_u32_e64 v99, null, v97, v87, s16
	.loc	1 73 31                         ; persistent_matmul.py:73:31
	v_cvt_f16_f32_e32 v100, v35
	.loc	1 74 25                         ; persistent_matmul.py:74:25
	global_store_b16 v[98:99], v100, off
	s_wait_alu depctr_sa_sdst(0)
	s_or_b32 exec_lo, exec_lo, s58
	.loc	1 69 43                         ; persistent_matmul.py:69:43
	s_and_b32 s16, s15, s11
	.loc	1 74 25                         ; persistent_matmul.py:74:25
	s_wait_alu depctr_sa_sdst(0)
	s_and_saveexec_b32 s58, s16
	s_cbranch_execz .LBB0_278
.LBB0_358:                              ;   in Loop: Header=BB0_133 Depth=1
	.loc	1 68 56                         ; persistent_matmul.py:68:56
	v_add_co_u32 v98, s16, v96, v88
	s_wait_alu depctr_va_sdst(0)
	v_add_co_ci_u32_e64 v99, null, v97, v89, s16
	.loc	1 73 31                         ; persistent_matmul.py:73:31
	v_cvt_f16_f32_e32 v100, v36
	.loc	1 74 25                         ; persistent_matmul.py:74:25
	global_store_b16 v[98:99], v100, off
	s_wait_alu depctr_sa_sdst(0)
	s_or_b32 exec_lo, exec_lo, s58
	.loc	1 69 43                         ; persistent_matmul.py:69:43
	s_and_b32 s16, s15, s12
	.loc	1 74 25                         ; persistent_matmul.py:74:25
	s_wait_alu depctr_sa_sdst(0)
	s_and_saveexec_b32 s58, s16
	s_cbranch_execz .LBB0_279
.LBB0_359:                              ;   in Loop: Header=BB0_133 Depth=1
	.loc	1 68 56                         ; persistent_matmul.py:68:56
	v_add_co_u32 v98, s16, v96, v90
	s_wait_alu depctr_va_sdst(0)
	v_add_co_ci_u32_e64 v99, null, v97, v91, s16
	.loc	1 73 31                         ; persistent_matmul.py:73:31
	v_cvt_f16_f32_e32 v100, v37
	.loc	1 74 25                         ; persistent_matmul.py:74:25
	global_store_b16 v[98:99], v100, off
	s_wait_alu depctr_sa_sdst(0)
	s_or_b32 exec_lo, exec_lo, s58
	.loc	1 69 43                         ; persistent_matmul.py:69:43
	s_and_b32 s16, s15, s13
	.loc	1 74 25                         ; persistent_matmul.py:74:25
	s_wait_alu depctr_sa_sdst(0)
	s_and_saveexec_b32 s58, s16
	s_cbranch_execz .LBB0_280
.LBB0_360:                              ;   in Loop: Header=BB0_133 Depth=1
	.loc	1 68 56                         ; persistent_matmul.py:68:56
	v_add_co_u32 v98, s16, v96, v92
	s_wait_alu depctr_va_sdst(0)
	v_add_co_ci_u32_e64 v99, null, v97, v93, s16
	.loc	1 73 31                         ; persistent_matmul.py:73:31
	v_cvt_f16_f32_e32 v100, v38
	.loc	1 74 25                         ; persistent_matmul.py:74:25
	global_store_b16 v[98:99], v100, off
	s_wait_alu depctr_sa_sdst(0)
	s_or_b32 exec_lo, exec_lo, s58
	.loc	1 69 43                         ; persistent_matmul.py:69:43
	s_and_b32 s15, s15, s14
	.loc	1 74 25                         ; persistent_matmul.py:74:25
	s_wait_alu depctr_sa_sdst(0)
	s_and_saveexec_b32 s16, s15
	s_cbranch_execnz .LBB0_281
	s_branch .LBB0_282
.LBB0_361:                              ;   in Loop: Header=BB0_133 Depth=1
	.loc	1 68 56                         ; persistent_matmul.py:68:56
	v_add_co_u32 v98, s16, v96, v64
	s_wait_alu depctr_va_sdst(0)
	v_add_co_ci_u32_e64 v99, null, v97, v65, s16
	.loc	1 73 31                         ; persistent_matmul.py:73:31
	v_cvt_f16_f32_e32 v100, v24
	.loc	1 74 25                         ; persistent_matmul.py:74:25
	global_store_b16 v[98:99], v100, off
	s_wait_alu depctr_sa_sdst(0)
	s_or_b32 exec_lo, exec_lo, s58
	.loc	1 69 43                         ; persistent_matmul.py:69:43
	s_and_b32 s16, s15, s0
	.loc	1 74 25                         ; persistent_matmul.py:74:25
	s_wait_alu depctr_sa_sdst(0)
	s_and_saveexec_b32 s58, s16
	s_cbranch_execz .LBB0_284
.LBB0_362:                              ;   in Loop: Header=BB0_133 Depth=1
	.loc	1 68 56                         ; persistent_matmul.py:68:56
	v_add_co_u32 v98, s16, v96, v66
	s_wait_alu depctr_va_sdst(0)
	v_add_co_ci_u32_e64 v99, null, v97, v67, s16
	.loc	1 73 31                         ; persistent_matmul.py:73:31
	v_cvt_f16_f32_e32 v100, v25
	.loc	1 74 25                         ; persistent_matmul.py:74:25
	global_store_b16 v[98:99], v100, off
	s_wait_alu depctr_sa_sdst(0)
	s_or_b32 exec_lo, exec_lo, s58
	.loc	1 69 43                         ; persistent_matmul.py:69:43
	s_and_b32 s16, s15, s1
	.loc	1 74 25                         ; persistent_matmul.py:74:25
	s_wait_alu depctr_sa_sdst(0)
	s_and_saveexec_b32 s58, s16
	s_cbranch_execz .LBB0_285
.LBB0_363:                              ;   in Loop: Header=BB0_133 Depth=1
	.loc	1 68 56                         ; persistent_matmul.py:68:56
	v_add_co_u32 v98, s16, v96, v68
	s_wait_alu depctr_va_sdst(0)
	v_add_co_ci_u32_e64 v99, null, v97, v69, s16
	.loc	1 73 31                         ; persistent_matmul.py:73:31
	v_cvt_f16_f32_e32 v100, v26
	.loc	1 74 25                         ; persistent_matmul.py:74:25
	global_store_b16 v[98:99], v100, off
	s_wait_alu depctr_sa_sdst(0)
	s_or_b32 exec_lo, exec_lo, s58
	.loc	1 69 43                         ; persistent_matmul.py:69:43
	s_and_b32 s16, s15, s2
	.loc	1 74 25                         ; persistent_matmul.py:74:25
	s_wait_alu depctr_sa_sdst(0)
	s_and_saveexec_b32 s58, s16
	s_cbranch_execz .LBB0_286
.LBB0_364:                              ;   in Loop: Header=BB0_133 Depth=1
	.loc	1 68 56                         ; persistent_matmul.py:68:56
	v_add_co_u32 v98, s16, v96, v70
	s_wait_alu depctr_va_sdst(0)
	v_add_co_ci_u32_e64 v99, null, v97, v71, s16
	.loc	1 73 31                         ; persistent_matmul.py:73:31
	v_cvt_f16_f32_e32 v100, v27
	.loc	1 74 25                         ; persistent_matmul.py:74:25
	global_store_b16 v[98:99], v100, off
	s_wait_alu depctr_sa_sdst(0)
	s_or_b32 exec_lo, exec_lo, s58
	.loc	1 69 43                         ; persistent_matmul.py:69:43
	s_and_b32 s16, s15, s3
	.loc	1 74 25                         ; persistent_matmul.py:74:25
	s_wait_alu depctr_sa_sdst(0)
	s_and_saveexec_b32 s58, s16
	s_cbranch_execz .LBB0_287
.LBB0_365:                              ;   in Loop: Header=BB0_133 Depth=1
	.loc	1 68 56                         ; persistent_matmul.py:68:56
	v_add_co_u32 v98, s16, v96, v72
	s_wait_alu depctr_va_sdst(0)
	v_add_co_ci_u32_e64 v99, null, v97, v73, s16
	.loc	1 73 31                         ; persistent_matmul.py:73:31
	v_cvt_f16_f32_e32 v100, v28
	.loc	1 74 25                         ; persistent_matmul.py:74:25
	global_store_b16 v[98:99], v100, off
	s_wait_alu depctr_sa_sdst(0)
	s_or_b32 exec_lo, exec_lo, s58
	.loc	1 69 43                         ; persistent_matmul.py:69:43
	s_and_b32 s16, s15, s4
	.loc	1 74 25                         ; persistent_matmul.py:74:25
	s_wait_alu depctr_sa_sdst(0)
	s_and_saveexec_b32 s58, s16
	s_cbranch_execz .LBB0_288
.LBB0_366:                              ;   in Loop: Header=BB0_133 Depth=1
	.loc	1 68 56                         ; persistent_matmul.py:68:56
	v_add_co_u32 v98, s16, v96, v74
	s_wait_alu depctr_va_sdst(0)
	v_add_co_ci_u32_e64 v99, null, v97, v75, s16
	.loc	1 73 31                         ; persistent_matmul.py:73:31
	v_cvt_f16_f32_e32 v100, v29
	.loc	1 74 25                         ; persistent_matmul.py:74:25
	global_store_b16 v[98:99], v100, off
	s_wait_alu depctr_sa_sdst(0)
	s_or_b32 exec_lo, exec_lo, s58
	.loc	1 69 43                         ; persistent_matmul.py:69:43
	s_and_b32 s16, s15, s5
	.loc	1 74 25                         ; persistent_matmul.py:74:25
	s_wait_alu depctr_sa_sdst(0)
	s_and_saveexec_b32 s58, s16
	s_cbranch_execz .LBB0_289
.LBB0_367:                              ;   in Loop: Header=BB0_133 Depth=1
	.loc	1 68 56                         ; persistent_matmul.py:68:56
	v_add_co_u32 v98, s16, v96, v76
	s_wait_alu depctr_va_sdst(0)
	v_add_co_ci_u32_e64 v99, null, v97, v77, s16
	.loc	1 73 31                         ; persistent_matmul.py:73:31
	v_cvt_f16_f32_e32 v100, v30
	.loc	1 74 25                         ; persistent_matmul.py:74:25
	global_store_b16 v[98:99], v100, off
	s_wait_alu depctr_sa_sdst(0)
	s_or_b32 exec_lo, exec_lo, s58
	.loc	1 69 43                         ; persistent_matmul.py:69:43
	s_and_b32 s16, s15, s6
	.loc	1 74 25                         ; persistent_matmul.py:74:25
	s_wait_alu depctr_sa_sdst(0)
	s_and_saveexec_b32 s58, s16
	s_cbranch_execz .LBB0_290
.LBB0_368:                              ;   in Loop: Header=BB0_133 Depth=1
	.loc	1 68 56                         ; persistent_matmul.py:68:56
	v_add_co_u32 v98, s16, v96, v78
	s_wait_alu depctr_va_sdst(0)
	v_add_co_ci_u32_e64 v99, null, v97, v79, s16
	.loc	1 73 31                         ; persistent_matmul.py:73:31
	v_cvt_f16_f32_e32 v100, v31
	.loc	1 74 25                         ; persistent_matmul.py:74:25
	global_store_b16 v[98:99], v100, off
	s_wait_alu depctr_sa_sdst(0)
	s_or_b32 exec_lo, exec_lo, s58
	.loc	1 69 43                         ; persistent_matmul.py:69:43
	s_and_b32 s16, s15, s7
	.loc	1 74 25                         ; persistent_matmul.py:74:25
	s_wait_alu depctr_sa_sdst(0)
	s_and_saveexec_b32 s58, s16
	s_cbranch_execz .LBB0_291
.LBB0_369:                              ;   in Loop: Header=BB0_133 Depth=1
	.loc	1 68 56                         ; persistent_matmul.py:68:56
	v_add_co_u32 v98, s16, v96, v80
	s_wait_alu depctr_va_sdst(0)
	v_add_co_ci_u32_e64 v99, null, v97, v81, s16
	.loc	1 73 31                         ; persistent_matmul.py:73:31
	v_cvt_f16_f32_e32 v100, v16
	.loc	1 74 25                         ; persistent_matmul.py:74:25
	global_store_b16 v[98:99], v100, off
	s_wait_alu depctr_sa_sdst(0)
	s_or_b32 exec_lo, exec_lo, s58
	.loc	1 69 43                         ; persistent_matmul.py:69:43
	s_and_b32 s16, s15, s8
	.loc	1 74 25                         ; persistent_matmul.py:74:25
	s_wait_alu depctr_sa_sdst(0)
	s_and_saveexec_b32 s58, s16
	s_cbranch_execz .LBB0_292
.LBB0_370:                              ;   in Loop: Header=BB0_133 Depth=1
	.loc	1 68 56                         ; persistent_matmul.py:68:56
	v_add_co_u32 v98, s16, v96, v82
	s_wait_alu depctr_va_sdst(0)
	v_add_co_ci_u32_e64 v99, null, v97, v83, s16
	.loc	1 73 31                         ; persistent_matmul.py:73:31
	v_cvt_f16_f32_e32 v100, v17
	.loc	1 74 25                         ; persistent_matmul.py:74:25
	global_store_b16 v[98:99], v100, off
	s_wait_alu depctr_sa_sdst(0)
	s_or_b32 exec_lo, exec_lo, s58
	.loc	1 69 43                         ; persistent_matmul.py:69:43
	s_and_b32 s16, s15, s9
	.loc	1 74 25                         ; persistent_matmul.py:74:25
	s_wait_alu depctr_sa_sdst(0)
	s_and_saveexec_b32 s58, s16
	s_cbranch_execz .LBB0_293
.LBB0_371:                              ;   in Loop: Header=BB0_133 Depth=1
	.loc	1 68 56                         ; persistent_matmul.py:68:56
	v_add_co_u32 v98, s16, v96, v84
	s_wait_alu depctr_va_sdst(0)
	v_add_co_ci_u32_e64 v99, null, v97, v85, s16
	.loc	1 73 31                         ; persistent_matmul.py:73:31
	v_cvt_f16_f32_e32 v100, v18
	.loc	1 74 25                         ; persistent_matmul.py:74:25
	global_store_b16 v[98:99], v100, off
	s_wait_alu depctr_sa_sdst(0)
	s_or_b32 exec_lo, exec_lo, s58
	.loc	1 69 43                         ; persistent_matmul.py:69:43
	s_and_b32 s16, s15, s10
	.loc	1 74 25                         ; persistent_matmul.py:74:25
	s_wait_alu depctr_sa_sdst(0)
	s_and_saveexec_b32 s58, s16
	s_cbranch_execz .LBB0_294
.LBB0_372:                              ;   in Loop: Header=BB0_133 Depth=1
	.loc	1 68 56                         ; persistent_matmul.py:68:56
	v_add_co_u32 v98, s16, v96, v86
	s_wait_alu depctr_va_sdst(0)
	v_add_co_ci_u32_e64 v99, null, v97, v87, s16
	.loc	1 73 31                         ; persistent_matmul.py:73:31
	v_cvt_f16_f32_e32 v100, v19
	.loc	1 74 25                         ; persistent_matmul.py:74:25
	global_store_b16 v[98:99], v100, off
	s_wait_alu depctr_sa_sdst(0)
	s_or_b32 exec_lo, exec_lo, s58
	.loc	1 69 43                         ; persistent_matmul.py:69:43
	s_and_b32 s16, s15, s11
	.loc	1 74 25                         ; persistent_matmul.py:74:25
	s_wait_alu depctr_sa_sdst(0)
	s_and_saveexec_b32 s58, s16
	s_cbranch_execz .LBB0_295
.LBB0_373:                              ;   in Loop: Header=BB0_133 Depth=1
	.loc	1 68 56                         ; persistent_matmul.py:68:56
	v_add_co_u32 v98, s16, v96, v88
	s_wait_alu depctr_va_sdst(0)
	v_add_co_ci_u32_e64 v99, null, v97, v89, s16
	.loc	1 73 31                         ; persistent_matmul.py:73:31
	v_cvt_f16_f32_e32 v100, v20
	.loc	1 74 25                         ; persistent_matmul.py:74:25
	global_store_b16 v[98:99], v100, off
	s_wait_alu depctr_sa_sdst(0)
	s_or_b32 exec_lo, exec_lo, s58
	.loc	1 69 43                         ; persistent_matmul.py:69:43
	s_and_b32 s16, s15, s12
	.loc	1 74 25                         ; persistent_matmul.py:74:25
	s_wait_alu depctr_sa_sdst(0)
	s_and_saveexec_b32 s58, s16
	s_cbranch_execz .LBB0_296
.LBB0_374:                              ;   in Loop: Header=BB0_133 Depth=1
	.loc	1 68 56                         ; persistent_matmul.py:68:56
	v_add_co_u32 v98, s16, v96, v90
	s_wait_alu depctr_va_sdst(0)
	v_add_co_ci_u32_e64 v99, null, v97, v91, s16
	.loc	1 73 31                         ; persistent_matmul.py:73:31
	v_cvt_f16_f32_e32 v100, v21
	.loc	1 74 25                         ; persistent_matmul.py:74:25
	global_store_b16 v[98:99], v100, off
	s_wait_alu depctr_sa_sdst(0)
	s_or_b32 exec_lo, exec_lo, s58
	.loc	1 69 43                         ; persistent_matmul.py:69:43
	s_and_b32 s16, s15, s13
	.loc	1 74 25                         ; persistent_matmul.py:74:25
	s_wait_alu depctr_sa_sdst(0)
	s_and_saveexec_b32 s58, s16
	s_cbranch_execz .LBB0_297
.LBB0_375:                              ;   in Loop: Header=BB0_133 Depth=1
	.loc	1 68 56                         ; persistent_matmul.py:68:56
	v_add_co_u32 v98, s16, v96, v92
	s_wait_alu depctr_va_sdst(0)
	v_add_co_ci_u32_e64 v99, null, v97, v93, s16
	.loc	1 73 31                         ; persistent_matmul.py:73:31
	v_cvt_f16_f32_e32 v100, v22
	.loc	1 74 25                         ; persistent_matmul.py:74:25
	global_store_b16 v[98:99], v100, off
	s_wait_alu depctr_sa_sdst(0)
	s_or_b32 exec_lo, exec_lo, s58
	.loc	1 69 43                         ; persistent_matmul.py:69:43
	s_and_b32 s15, s15, s14
	.loc	1 74 25                         ; persistent_matmul.py:74:25
	s_wait_alu depctr_sa_sdst(0)
	s_and_saveexec_b32 s16, s15
	s_cbranch_execnz .LBB0_298
	s_branch .LBB0_299
.LBB0_376:                              ;   in Loop: Header=BB0_133 Depth=1
	.loc	1 68 56                         ; persistent_matmul.py:68:56
	v_add_co_u32 v64, vcc_lo, v96, v64
	s_wait_alu depctr_va_vcc(0)
	v_add_co_ci_u32_e64 v65, null, v97, v65, vcc_lo
	.loc	1 73 31                         ; persistent_matmul.py:73:31
	v_cvt_f16_f32_e32 v98, v8
	.loc	1 74 25                         ; persistent_matmul.py:74:25
	global_store_b16 v[64:65], v98, off
	s_wait_alu depctr_sa_sdst(0)
	s_or_b32 exec_lo, exec_lo, s16
	.loc	1 69 43                         ; persistent_matmul.py:69:43
	s_and_b32 s16, s15, s0
	.loc	1 74 25                         ; persistent_matmul.py:74:25
	s_wait_alu depctr_sa_sdst(0)
	s_and_saveexec_b32 s0, s16
	s_cbranch_execz .LBB0_301
.LBB0_377:                              ;   in Loop: Header=BB0_133 Depth=1
	.loc	1 68 56                         ; persistent_matmul.py:68:56
	v_add_co_u32 v64, vcc_lo, v96, v66
	s_wait_alu depctr_va_vcc(0)
	v_add_co_ci_u32_e64 v65, null, v97, v67, vcc_lo
	.loc	1 73 31                         ; persistent_matmul.py:73:31
	v_cvt_f16_f32_e32 v66, v9
	.loc	1 74 25                         ; persistent_matmul.py:74:25
	global_store_b16 v[64:65], v66, off
	s_wait_alu depctr_sa_sdst(0)
	s_or_b32 exec_lo, exec_lo, s0
	.loc	1 69 43                         ; persistent_matmul.py:69:43
	s_and_b32 s1, s15, s1
	.loc	1 74 25                         ; persistent_matmul.py:74:25
	s_wait_alu depctr_sa_sdst(0)
	s_and_saveexec_b32 s0, s1
	s_cbranch_execz .LBB0_302
.LBB0_378:                              ;   in Loop: Header=BB0_133 Depth=1
	.loc	1 68 56                         ; persistent_matmul.py:68:56
	v_add_co_u32 v64, vcc_lo, v96, v68
	s_wait_alu depctr_va_vcc(0)
	v_add_co_ci_u32_e64 v65, null, v97, v69, vcc_lo
	.loc	1 73 31                         ; persistent_matmul.py:73:31
	v_cvt_f16_f32_e32 v66, v10
	.loc	1 74 25                         ; persistent_matmul.py:74:25
	global_store_b16 v[64:65], v66, off
	s_wait_alu depctr_sa_sdst(0)
	s_or_b32 exec_lo, exec_lo, s0
	.loc	1 69 43                         ; persistent_matmul.py:69:43
	s_and_b32 s1, s15, s2
	.loc	1 74 25                         ; persistent_matmul.py:74:25
	s_wait_alu depctr_sa_sdst(0)
	s_and_saveexec_b32 s0, s1
	s_cbranch_execz .LBB0_303
.LBB0_379:                              ;   in Loop: Header=BB0_133 Depth=1
	.loc	1 68 56                         ; persistent_matmul.py:68:56
	v_add_co_u32 v64, vcc_lo, v96, v70
	s_wait_alu depctr_va_vcc(0)
	v_add_co_ci_u32_e64 v65, null, v97, v71, vcc_lo
	.loc	1 73 31                         ; persistent_matmul.py:73:31
	v_cvt_f16_f32_e32 v66, v11
	.loc	1 74 25                         ; persistent_matmul.py:74:25
	global_store_b16 v[64:65], v66, off
	s_wait_alu depctr_sa_sdst(0)
	s_or_b32 exec_lo, exec_lo, s0
	.loc	1 69 43                         ; persistent_matmul.py:69:43
	s_and_b32 s1, s15, s3
	.loc	1 74 25                         ; persistent_matmul.py:74:25
	s_wait_alu depctr_sa_sdst(0)
	s_and_saveexec_b32 s0, s1
	s_cbranch_execz .LBB0_304
.LBB0_380:                              ;   in Loop: Header=BB0_133 Depth=1
	.loc	1 68 56                         ; persistent_matmul.py:68:56
	v_add_co_u32 v64, vcc_lo, v96, v72
	s_wait_alu depctr_va_vcc(0)
	v_add_co_ci_u32_e64 v65, null, v97, v73, vcc_lo
	.loc	1 73 31                         ; persistent_matmul.py:73:31
	v_cvt_f16_f32_e32 v66, v12
	.loc	1 74 25                         ; persistent_matmul.py:74:25
	global_store_b16 v[64:65], v66, off
	s_wait_alu depctr_sa_sdst(0)
	s_or_b32 exec_lo, exec_lo, s0
	.loc	1 69 43                         ; persistent_matmul.py:69:43
	s_and_b32 s1, s15, s4
	.loc	1 74 25                         ; persistent_matmul.py:74:25
	s_wait_alu depctr_sa_sdst(0)
	s_and_saveexec_b32 s0, s1
	s_cbranch_execz .LBB0_305
.LBB0_381:                              ;   in Loop: Header=BB0_133 Depth=1
	.loc	1 68 56                         ; persistent_matmul.py:68:56
	v_add_co_u32 v64, vcc_lo, v96, v74
	s_wait_alu depctr_va_vcc(0)
	v_add_co_ci_u32_e64 v65, null, v97, v75, vcc_lo
	.loc	1 73 31                         ; persistent_matmul.py:73:31
	v_cvt_f16_f32_e32 v66, v13
	.loc	1 74 25                         ; persistent_matmul.py:74:25
	global_store_b16 v[64:65], v66, off
	s_wait_alu depctr_sa_sdst(0)
	s_or_b32 exec_lo, exec_lo, s0
	.loc	1 69 43                         ; persistent_matmul.py:69:43
	s_and_b32 s1, s15, s5
	.loc	1 74 25                         ; persistent_matmul.py:74:25
	s_wait_alu depctr_sa_sdst(0)
	s_and_saveexec_b32 s0, s1
	s_cbranch_execz .LBB0_306
.LBB0_382:                              ;   in Loop: Header=BB0_133 Depth=1
	.loc	1 68 56                         ; persistent_matmul.py:68:56
	v_add_co_u32 v64, vcc_lo, v96, v76
	s_wait_alu depctr_va_vcc(0)
	v_add_co_ci_u32_e64 v65, null, v97, v77, vcc_lo
	.loc	1 73 31                         ; persistent_matmul.py:73:31
	v_cvt_f16_f32_e32 v66, v14
	.loc	1 74 25                         ; persistent_matmul.py:74:25
	global_store_b16 v[64:65], v66, off
	s_wait_alu depctr_sa_sdst(0)
	s_or_b32 exec_lo, exec_lo, s0
	.loc	1 69 43                         ; persistent_matmul.py:69:43
	s_and_b32 s1, s15, s6
	.loc	1 74 25                         ; persistent_matmul.py:74:25
	s_wait_alu depctr_sa_sdst(0)
	s_and_saveexec_b32 s0, s1
	s_cbranch_execz .LBB0_307
.LBB0_383:                              ;   in Loop: Header=BB0_133 Depth=1
	.loc	1 68 56                         ; persistent_matmul.py:68:56
	v_add_co_u32 v64, vcc_lo, v96, v78
	s_wait_alu depctr_va_vcc(0)
	v_add_co_ci_u32_e64 v65, null, v97, v79, vcc_lo
	.loc	1 73 31                         ; persistent_matmul.py:73:31
	v_cvt_f16_f32_e32 v66, v15
	.loc	1 74 25                         ; persistent_matmul.py:74:25
	global_store_b16 v[64:65], v66, off
	s_wait_alu depctr_sa_sdst(0)
	s_or_b32 exec_lo, exec_lo, s0
	.loc	1 69 43                         ; persistent_matmul.py:69:43
	s_and_b32 s1, s15, s7
	.loc	1 74 25                         ; persistent_matmul.py:74:25
	s_wait_alu depctr_sa_sdst(0)
	s_and_saveexec_b32 s0, s1
	s_cbranch_execz .LBB0_308
.LBB0_384:                              ;   in Loop: Header=BB0_133 Depth=1
	.loc	1 68 56                         ; persistent_matmul.py:68:56
	v_add_co_u32 v64, vcc_lo, v96, v80
	s_wait_alu depctr_va_vcc(0)
	v_add_co_ci_u32_e64 v65, null, v97, v81, vcc_lo
	.loc	1 73 31                         ; persistent_matmul.py:73:31
	v_cvt_f16_f32_e32 v66, v0
	.loc	1 74 25                         ; persistent_matmul.py:74:25
	global_store_b16 v[64:65], v66, off
	s_wait_alu depctr_sa_sdst(0)
	s_or_b32 exec_lo, exec_lo, s0
	.loc	1 69 43                         ; persistent_matmul.py:69:43
	s_and_b32 s1, s15, s8
	.loc	1 74 25                         ; persistent_matmul.py:74:25
	s_wait_alu depctr_sa_sdst(0)
	s_and_saveexec_b32 s0, s1
	s_cbranch_execz .LBB0_309
.LBB0_385:                              ;   in Loop: Header=BB0_133 Depth=1
	.loc	1 68 56                         ; persistent_matmul.py:68:56
	v_add_co_u32 v64, vcc_lo, v96, v82
	s_wait_alu depctr_va_vcc(0)
	v_add_co_ci_u32_e64 v65, null, v97, v83, vcc_lo
	.loc	1 73 31                         ; persistent_matmul.py:73:31
	v_cvt_f16_f32_e32 v66, v1
	.loc	1 74 25                         ; persistent_matmul.py:74:25
	global_store_b16 v[64:65], v66, off
	s_wait_alu depctr_sa_sdst(0)
	s_or_b32 exec_lo, exec_lo, s0
	.loc	1 69 43                         ; persistent_matmul.py:69:43
	s_and_b32 s1, s15, s9
	.loc	1 74 25                         ; persistent_matmul.py:74:25
	s_wait_alu depctr_sa_sdst(0)
	s_and_saveexec_b32 s0, s1
	s_cbranch_execz .LBB0_310
.LBB0_386:                              ;   in Loop: Header=BB0_133 Depth=1
	.loc	1 68 56                         ; persistent_matmul.py:68:56
	v_add_co_u32 v64, vcc_lo, v96, v84
	s_wait_alu depctr_va_vcc(0)
	v_add_co_ci_u32_e64 v65, null, v97, v85, vcc_lo
	.loc	1 73 31                         ; persistent_matmul.py:73:31
	v_cvt_f16_f32_e32 v66, v2
	.loc	1 74 25                         ; persistent_matmul.py:74:25
	global_store_b16 v[64:65], v66, off
	s_wait_alu depctr_sa_sdst(0)
	s_or_b32 exec_lo, exec_lo, s0
	.loc	1 69 43                         ; persistent_matmul.py:69:43
	s_and_b32 s1, s15, s10
	.loc	1 74 25                         ; persistent_matmul.py:74:25
	s_wait_alu depctr_sa_sdst(0)
	s_and_saveexec_b32 s0, s1
	s_cbranch_execz .LBB0_311
.LBB0_387:                              ;   in Loop: Header=BB0_133 Depth=1
	.loc	1 68 56                         ; persistent_matmul.py:68:56
	v_add_co_u32 v64, vcc_lo, v96, v86
	s_wait_alu depctr_va_vcc(0)
	v_add_co_ci_u32_e64 v65, null, v97, v87, vcc_lo
	.loc	1 73 31                         ; persistent_matmul.py:73:31
	v_cvt_f16_f32_e32 v66, v3
	.loc	1 74 25                         ; persistent_matmul.py:74:25
	global_store_b16 v[64:65], v66, off
	s_wait_alu depctr_sa_sdst(0)
	s_or_b32 exec_lo, exec_lo, s0
	.loc	1 69 43                         ; persistent_matmul.py:69:43
	s_and_b32 s1, s15, s11
	.loc	1 74 25                         ; persistent_matmul.py:74:25
	s_wait_alu depctr_sa_sdst(0)
	s_and_saveexec_b32 s0, s1
	s_cbranch_execz .LBB0_312
.LBB0_388:                              ;   in Loop: Header=BB0_133 Depth=1
	.loc	1 68 56                         ; persistent_matmul.py:68:56
	v_add_co_u32 v64, vcc_lo, v96, v88
	s_wait_alu depctr_va_vcc(0)
	v_add_co_ci_u32_e64 v65, null, v97, v89, vcc_lo
	.loc	1 73 31                         ; persistent_matmul.py:73:31
	v_cvt_f16_f32_e32 v66, v4
	.loc	1 74 25                         ; persistent_matmul.py:74:25
	global_store_b16 v[64:65], v66, off
	s_wait_alu depctr_sa_sdst(0)
	s_or_b32 exec_lo, exec_lo, s0
	.loc	1 69 43                         ; persistent_matmul.py:69:43
	s_and_b32 s1, s15, s12
	.loc	1 74 25                         ; persistent_matmul.py:74:25
	s_wait_alu depctr_sa_sdst(0)
	s_and_saveexec_b32 s0, s1
	s_cbranch_execz .LBB0_313
.LBB0_389:                              ;   in Loop: Header=BB0_133 Depth=1
	.loc	1 68 56                         ; persistent_matmul.py:68:56
	v_add_co_u32 v64, vcc_lo, v96, v90
	s_wait_alu depctr_va_vcc(0)
	v_add_co_ci_u32_e64 v65, null, v97, v91, vcc_lo
	.loc	1 73 31                         ; persistent_matmul.py:73:31
	v_cvt_f16_f32_e32 v66, v5
	.loc	1 74 25                         ; persistent_matmul.py:74:25
	global_store_b16 v[64:65], v66, off
	s_wait_alu depctr_sa_sdst(0)
	s_or_b32 exec_lo, exec_lo, s0
	.loc	1 69 43                         ; persistent_matmul.py:69:43
	s_and_b32 s1, s15, s13
	.loc	1 74 25                         ; persistent_matmul.py:74:25
	s_wait_alu depctr_sa_sdst(0)
	s_and_saveexec_b32 s0, s1
	s_cbranch_execz .LBB0_314
.LBB0_390:                              ;   in Loop: Header=BB0_133 Depth=1
	.loc	1 68 56                         ; persistent_matmul.py:68:56
	v_add_co_u32 v64, vcc_lo, v96, v92
	s_wait_alu depctr_va_vcc(0)
	v_add_co_ci_u32_e64 v65, null, v97, v93, vcc_lo
	.loc	1 73 31                         ; persistent_matmul.py:73:31
	v_cvt_f16_f32_e32 v66, v6
	.loc	1 74 25                         ; persistent_matmul.py:74:25
	global_store_b16 v[64:65], v66, off
	s_wait_alu depctr_sa_sdst(0)
	s_or_b32 exec_lo, exec_lo, s0
	.loc	1 69 43                         ; persistent_matmul.py:69:43
	s_and_b32 s1, s15, s14
	.loc	1 74 25                         ; persistent_matmul.py:74:25
	s_wait_alu depctr_sa_sdst(0)
	s_and_saveexec_b32 s0, s1
	s_cbranch_execz .LBB0_131
.LBB0_391:                              ;   in Loop: Header=BB0_133 Depth=1
	.loc	1 68 56                         ; persistent_matmul.py:68:56
	v_add_co_u32 v64, vcc_lo, v96, v94
	s_wait_alu depctr_va_vcc(0)
	v_add_co_ci_u32_e64 v65, null, v97, v95, vcc_lo
	.loc	1 73 31                         ; persistent_matmul.py:73:31
	v_cvt_f16_f32_e32 v66, v7
	.loc	1 74 25                         ; persistent_matmul.py:74:25
	global_store_b16 v[64:65], v66, off
	s_branch .LBB0_131
.LBB0_392:                              ; %._crit_edge.loopexit
	.loc	1 64 21                         ; persistent_matmul.py:64:21
	s_add_co_i32 s0, s49, 0x130
	v_readlane_b32 s49, v240, 9
	v_readlane_b32 s15, v240, 10
	;; [unrolled: 1-line block ×3, first 2 shown]
	s_branch .LBB0_394
.LBB0_393:
	.loc	1 0 21 is_stmt 0                ; persistent_matmul.py:0:21
	v_mov_b32_e32 v7, 0
	s_mov_b32 s0, ttmp9
	s_delay_alu instid0(VALU_DEP_1)
	v_dual_mov_b32 v6, v7 :: v_dual_mov_b32 v5, v7
	v_dual_mov_b32 v4, v7 :: v_dual_mov_b32 v3, v7
	;; [unrolled: 1-line block ×31, first 2 shown]
	v_mov_b32_e32 v56, v7
.LBB0_394:                              ; %._crit_edge
	.loc	1 60 24 is_stmt 1               ; persistent_matmul.py:60:24
	s_wait_loadcnt_dscnt 0x0
	s_barrier_signal -1
	s_delay_alu instid0(VALU_DEP_1)
	.loc	1 62 39                         ; persistent_matmul.py:62:39
	s_and_not1_b32 vcc_lo, exec_lo, s16
	.loc	1 60 24                         ; persistent_matmul.py:60:24
	s_barrier_wait -1
	global_inv scope:SCOPE_SE
	.loc	1 62 39                         ; persistent_matmul.py:62:39
	s_wait_alu depctr_sa_sdst(0)
	s_cbranch_vccnz .LBB0_396
; %bb.395:
	.loc	1 61 24                         ; persistent_matmul.py:61:24
	v_lshl_add_u32 v64, v151, 7, 0
	s_and_b32 s1, s15, 0x60
	.loc	1 60 24                         ; persistent_matmul.py:60:24
	v_and_or_b32 v66, 0x870, v153, v152
	.loc	1 61 24                         ; persistent_matmul.py:61:24
	s_wait_alu depctr_sa_sdst(0)
	s_delay_alu instid0(VALU_DEP_2)
	v_add3_u32 v124, v64, v154, s1
	ds_load_u16 v71, v124 offset:18048
	ds_load_u16 v65, v124 offset:20992
	;; [unrolled: 1-line block ×3, first 2 shown]
	.loc	1 60 24                         ; persistent_matmul.py:60:24
	v_xor_b32_e32 v112, v66, v151
	.loc	1 61 24                         ; persistent_matmul.py:61:24
	ds_load_u16 v74, v124 offset:25728
	ds_load_u16 v79, v124 offset:26112
	;; [unrolled: 1-line block ×13, first 2 shown]
	s_wait_dscnt 0xd
	ds_load_u16_d16_hi v64, v124 offset:20736
	ds_load_u16 v95, v124 offset:17920
	ds_load_u16 v70, v124 offset:17536
	;; [unrolled: 1-line block ×8, first 2 shown]
	.loc	1 60 24                         ; persistent_matmul.py:60:24
	v_add_nc_u32_e32 v128, 0, v112
	v_xad_u32 v157, v112, 32, 0
	v_xad_u32 v161, v112, 64, 0
	;; [unrolled: 1-line block ×3, first 2 shown]
	.loc	1 61 24                         ; persistent_matmul.py:61:24
	s_wait_dscnt 0x14
	ds_load_u16_d16_hi v79, v124 offset:26368
	ds_load_u16_d16_hi v74, v124 offset:25984
	;; [unrolled: 1-line block ×4, first 2 shown]
	ds_load_u16 v94, v124 offset:17408
	ds_load_u16 v92, v124 offset:16384
	;; [unrolled: 1-line block ×3, first 2 shown]
	s_wait_dscnt 0x1a
	ds_load_u16_d16_hi v83, v124 offset:30592
	ds_load_u16 v91, v124 offset:30208
	ds_load_u16 v90, v124 offset:29696
	;; [unrolled: 1-line block ×3, first 2 shown]
	s_wait_dscnt 0x14
	ds_load_u16_d16_hi v88, v124 offset:28928
	ds_load_u16_d16_hi v75, v124 offset:26496
	s_wait_dscnt 0x14
	ds_load_u16_d16_hi v95, v124 offset:18176
	ds_load_u16 v78, v124 offset:25600
	ds_load_u16 v77, v124 offset:25088
	ds_load_u16_d16_hi v66, v124 offset:21760
	ds_load_u16_d16_hi v85, v124 offset:21376
	;; [unrolled: 1-line block ×3, first 2 shown]
	s_wait_dscnt 0x13
	ds_load_u16_d16_hi v93, v124 offset:17152
	ds_load_u16_d16_hi v68, v124 offset:16768
	;; [unrolled: 1-line block ×8, first 2 shown]
	s_wait_dscnt 0x16
	ds_load_u16_d16_hi v94, v124 offset:17664
	s_wait_dscnt 0x16
	ds_load_u16_d16_hi v92, v124 offset:16640
	.loc	1 60 24                         ; persistent_matmul.py:60:24
	ds_load_b128 v[96:99], v128 offset:4096
	ds_load_b128 v[100:103], v128
	ds_load_b128 v[104:107], v157 offset:4096
	ds_load_b128 v[108:111], v157
	.loc	1 61 24                         ; persistent_matmul.py:61:24
	ds_load_u16_d16_hi v73, v124 offset:25472
	ds_load_u16_d16_hi v72, v124 offset:24960
	s_wait_dscnt 0x14
	ds_load_u16_d16_hi v78, v124 offset:25856
	s_wait_dscnt 0x14
	ds_load_u16_d16_hi v77, v124 offset:25344
	.loc	1 60 24                         ; persistent_matmul.py:60:24
	ds_load_b128 v[112:115], v161 offset:4096
	ds_load_b128 v[116:119], v161
	.loc	1 61 24                         ; persistent_matmul.py:61:24
	ds_load_u16_d16_hi v89, v124 offset:29440
	ds_load_u16_d16_hi v80, v124 offset:29056
	.loc	1 60 24                         ; persistent_matmul.py:60:24
	ds_load_b128 v[120:123], v165
	.loc	1 61 24                         ; persistent_matmul.py:61:24
	ds_load_u16_d16_hi v82, v124 offset:30080
	ds_load_u16_d16_hi v91, v124 offset:30464
	;; [unrolled: 1-line block ×4, first 2 shown]
	.loc	1 60 24                         ; persistent_matmul.py:60:24
	ds_load_b128 v[124:127], v165 offset:4096
	ds_load_b128 v[149:152], v128 offset:12288
	;; [unrolled: 1-line block ×3, first 2 shown]
	.loc	1 62 39                         ; persistent_matmul.py:62:39
	s_wait_dscnt 0x13
	v_wmma_f32_16x16x16_f16 v[40:47], v[92:95], v[96:99], v[40:47]
	s_wait_dscnt 0x12
	v_wmma_f32_16x16x16_f16 v[56:63], v[92:95], v[100:103], v[56:63]
	v_wmma_f32_16x16x16_f16 v[48:55], v[68:71], v[100:103], v[48:55]
	.loc	1 60 24                         ; persistent_matmul.py:60:24
	ds_load_b128 v[100:103], v157 offset:12288
	ds_load_b128 v[157:160], v157 offset:8192
	.loc	1 62 39                         ; persistent_matmul.py:62:39
	v_wmma_f32_16x16x16_f16 v[32:39], v[68:71], v[96:99], v[32:39]
	s_wait_dscnt 0x13
	v_wmma_f32_16x16x16_f16 v[40:47], v[64:67], v[104:107], v[40:47]
	s_wait_dscnt 0x12
	v_wmma_f32_16x16x16_f16 v[56:63], v[64:67], v[108:111], v[56:63]
	v_wmma_f32_16x16x16_f16 v[48:55], v[84:87], v[108:111], v[48:55]
	.loc	1 60 24                         ; persistent_matmul.py:60:24
	ds_load_b128 v[108:111], v161 offset:12288
	ds_load_b128 v[161:164], v161 offset:8192
	.loc	1 62 39                         ; persistent_matmul.py:62:39
	s_wait_dscnt 0x4
	v_wmma_f32_16x16x16_f16 v[24:31], v[92:95], v[153:156], v[24:31]
	v_wmma_f32_16x16x16_f16 v[16:23], v[68:71], v[153:156], v[16:23]
	;; [unrolled: 1-line block ×4, first 2 shown]
	.loc	1 60 24                         ; persistent_matmul.py:60:24
	ds_load_b128 v[116:119], v165 offset:12288
	ds_load_b128 v[165:168], v165 offset:8192
	.loc	1 62 39                         ; persistent_matmul.py:62:39
	v_wmma_f32_16x16x16_f16 v[8:15], v[92:95], v[149:152], v[8:15]
	v_wmma_f32_16x16x16_f16 v[0:7], v[68:71], v[149:152], v[0:7]
	;; [unrolled: 1-line block ×6, first 2 shown]
	s_delay_alu instid0(VALU_DEP_4)
	v_wmma_f32_16x16x16_f16 v[32:39], v[72:75], v[112:115], v[32:39]
	s_wait_dscnt 0x5
	v_wmma_f32_16x16x16_f16 v[8:15], v[64:67], v[100:103], v[8:15]
	s_wait_dscnt 0x4
	v_wmma_f32_16x16x16_f16 v[24:31], v[64:67], v[157:160], v[24:31]
	v_wmma_f32_16x16x16_f16 v[16:23], v[84:87], v[157:160], v[16:23]
	v_wmma_f32_16x16x16_f16 v[0:7], v[84:87], v[100:103], v[0:7]
	v_wmma_f32_16x16x16_f16 v[40:47], v[88:91], v[124:127], v[40:47]
	s_wait_dscnt 0x3
	v_wmma_f32_16x16x16_f16 v[8:15], v[76:79], v[108:111], v[8:15]
	s_wait_dscnt 0x2
	v_wmma_f32_16x16x16_f16 v[24:31], v[76:79], v[161:164], v[24:31]
	v_wmma_f32_16x16x16_f16 v[16:23], v[72:75], v[161:164], v[16:23]
	v_wmma_f32_16x16x16_f16 v[0:7], v[72:75], v[108:111], v[0:7]
	;; [unrolled: 7-line block ×3, first 2 shown]
.LBB0_396:
	.loc	1 43 59                         ; persistent_matmul.py:43:59
	s_cmp_lg_u32 s61, s42
	s_cselect_b32 s1, -1, 0
	s_wait_alu depctr_sa_sdst(0)
	s_or_b32 s1, s44, s1
	s_wait_alu depctr_sa_sdst(0)
	s_and_b32 vcc_lo, exec_lo, s1
	s_wait_alu depctr_sa_sdst(0)
	s_cbranch_vccnz .LBB0_481
; %bb.397:
.Ltmp83:
	.loc	1 10 26                         ; persistent_matmul.py:10:26 @[ persistent_matmul.py:65:90 ]
	v_readlane_b32 s4, v241, 0
	v_readlane_b32 s5, v241, 1
	s_abs_i32 s2, s0
	s_mov_b32 s3, 0
	s_ashr_i32 s1, s0, 31
	s_wait_alu depctr_sa_sdst(0)
	s_mul_u64 s[4:5], s[2:3], s[4:5]
	v_readlane_b32 s4, v241, 2
	s_wait_alu depctr_sa_sdst(0)
	s_mul_i32 s3, s5, s36
	s_add_co_i32 s6, s5, 1
	s_wait_alu depctr_sa_sdst(0)
	s_sub_co_i32 s3, s2, s3
	s_xor_b32 s4, s1, s4
	s_wait_alu depctr_sa_sdst(0)
	s_sub_co_i32 s7, s3, s36
	s_cmp_ge_u32 s3, s36
	s_cselect_b32 s5, s6, s5
	s_wait_alu depctr_sa_sdst(0)
	s_cselect_b32 s3, s7, s3
	s_add_co_i32 s6, s5, 1
	s_wait_alu depctr_sa_sdst(0)
	s_cmp_ge_u32 s3, s36
	s_cselect_b32 s3, s6, s5
	s_wait_alu depctr_sa_sdst(0)
	s_xor_b32 s3, s3, s4
	s_wait_alu depctr_sa_sdst(0)
	s_sub_co_i32 s3, s3, s4
	.loc	1 11 29                         ; persistent_matmul.py:11:29 @[ persistent_matmul.py:65:90 ]
	s_wait_alu depctr_sa_sdst(0)
	s_lshl_b32 s4, s3, 3
	.loc	1 14 23                         ; persistent_matmul.py:14:23 @[ persistent_matmul.py:65:90 ]
	s_mul_i32 s3, s3, s35
	.loc	1 12 35                         ; persistent_matmul.py:12:35 @[ persistent_matmul.py:65:90 ]
	s_wait_alu depctr_sa_sdst(0)
	s_sub_co_i32 s5, s33, s4
	.loc	1 12 48 is_stmt 0               ; persistent_matmul.py:12:48 @[ persistent_matmul.py:65:90 ]
	s_wait_alu depctr_sa_sdst(0)
	s_min_i32 s5, s5, 8
	.loc	1 13 37 is_stmt 1               ; persistent_matmul.py:13:37 @[ persistent_matmul.py:65:90 ]
	s_wait_alu depctr_sa_sdst(0)
	s_abs_i32 s6, s5
	s_wait_alu depctr_sa_sdst(0)
	s_cvt_f32_u32 s7, s6
	s_sub_co_i32 s8, 0, s6
	s_wait_alu depctr_sa_sdst(0)
	s_delay_alu instid0(SALU_CYCLE_1) | instskip(NEXT) | instid1(TRANS32_DEP_1)
	v_rcp_iflag_f32_e32 v64, s7
	v_readfirstlane_b32 s7, v64
	s_mul_f32 s7, s7, 0x4f7ffffe
	s_wait_alu depctr_sa_sdst(0)
	s_delay_alu instid0(SALU_CYCLE_2) | instskip(SKIP_1) | instid1(SALU_CYCLE_2)
	s_cvt_u32_f32 s7, s7
	s_wait_alu depctr_sa_sdst(0)
	s_mul_i32 s8, s8, s7
	s_wait_alu depctr_sa_sdst(0)
	s_mul_hi_u32 s8, s7, s8
	s_wait_alu depctr_sa_sdst(0)
	s_add_co_i32 s7, s7, s8
	s_wait_alu depctr_sa_sdst(0)
	s_mul_hi_u32 s8, s2, s7
	s_wait_alu depctr_sa_sdst(0)
	s_mul_i32 s8, s8, s6
	s_wait_alu depctr_sa_sdst(0)
	s_sub_co_i32 s2, s2, s8
	s_wait_alu depctr_sa_sdst(0)
	s_sub_co_i32 s8, s2, s6
	s_cmp_ge_u32 s2, s6
	s_wait_alu depctr_sa_sdst(0)
	s_cselect_b32 s2, s8, s2
	s_wait_alu depctr_sa_sdst(0)
	s_sub_co_i32 s8, s2, s6
	s_cmp_ge_u32 s2, s6
	s_wait_alu depctr_sa_sdst(0)
	s_cselect_b32 s2, s8, s2
	.loc	1 14 23                         ; persistent_matmul.py:14:23 @[ persistent_matmul.py:65:90 ]
	s_sub_co_i32 s0, s0, s3
	.loc	1 13 37                         ; persistent_matmul.py:13:37 @[ persistent_matmul.py:65:90 ]
	s_wait_alu depctr_sa_sdst(0)
	s_xor_b32 s2, s2, s1
	.loc	1 14 44                         ; persistent_matmul.py:14:44 @[ persistent_matmul.py:65:90 ]
	s_xor_b32 s3, s0, s5
	s_abs_i32 s0, s0
	.loc	1 13 37                         ; persistent_matmul.py:13:37 @[ persistent_matmul.py:65:90 ]
	s_wait_alu depctr_sa_sdst(0)
	s_sub_co_i32 s1, s2, s1
	.loc	1 14 44                         ; persistent_matmul.py:14:44 @[ persistent_matmul.py:65:90 ]
	s_mul_hi_u32 s2, s0, s7
	s_ashr_i32 s3, s3, 31
	s_wait_alu depctr_sa_sdst(0)
	s_mul_i32 s5, s2, s6
	.loc	1 13 27                         ; persistent_matmul.py:13:27 @[ persistent_matmul.py:65:90 ]
	s_add_co_i32 s4, s4, s1
	.loc	1 14 44                         ; persistent_matmul.py:14:44 @[ persistent_matmul.py:65:90 ]
	s_wait_alu depctr_sa_sdst(0)
	s_sub_co_i32 s0, s0, s5
	s_add_co_i32 s1, s2, 1
	s_wait_alu depctr_sa_sdst(0)
	s_sub_co_i32 s5, s0, s6
	s_cmp_ge_u32 s0, s6
	s_cselect_b32 s1, s1, s2
	s_wait_alu depctr_sa_sdst(0)
	s_cselect_b32 s0, s5, s0
	s_add_co_i32 s2, s1, 1
	s_wait_alu depctr_sa_sdst(0)
	s_cmp_ge_u32 s0, s6
	s_cselect_b32 s0, s2, s1
.Ltmp84:
	.loc	1 66 26                         ; persistent_matmul.py:66:26
	s_lshl_b32 s17, s4, 7
.Ltmp85:
	.loc	1 14 44                         ; persistent_matmul.py:14:44 @[ persistent_matmul.py:65:90 ]
	s_wait_alu depctr_sa_sdst(0)
	s_xor_b32 s0, s0, s3
.Ltmp86:
	.loc	1 66 41                         ; persistent_matmul.py:66:41
	v_or_b32_e32 v67, s17, v129
.Ltmp87:
	.loc	1 14 44                         ; persistent_matmul.py:14:44 @[ persistent_matmul.py:65:90 ]
	s_wait_alu depctr_sa_sdst(0)
	s_sub_co_i32 s0, s0, s3
.Ltmp88:
	.loc	1 67 26                         ; persistent_matmul.py:67:26
	s_wait_alu depctr_sa_sdst(0)
	s_lshl_b32 s16, s0, 7
	.loc	1 68 37                         ; persistent_matmul.py:68:37
	v_mul_lo_u32 v64, v67, s18
	.loc	1 67 41                         ; persistent_matmul.py:67:41
	s_wait_alu depctr_sa_sdst(0)
	v_or_b32_e32 v68, s16, v130
	.loc	1 69 37                         ; persistent_matmul.py:69:37
	v_cmp_gt_i32_e64 s15, s22, v67
	s_delay_alu instid0(VALU_DEP_2) | instskip(NEXT) | instid1(VALU_DEP_4)
	.loc	1 69 62 is_stmt 0               ; persistent_matmul.py:69:62
	v_cmp_gt_i32_e32 vcc_lo, s23, v68
	.loc	1 68 25 is_stmt 1               ; persistent_matmul.py:68:25
	v_ashrrev_i32_e32 v65, 31, v64
	s_delay_alu instid0(VALU_DEP_1) | instskip(SKIP_1) | instid1(VALU_DEP_2)
	v_lshlrev_b64_e32 v[65:66], 1, v[64:65]
	.loc	1 68 68 is_stmt 0               ; persistent_matmul.py:68:68
	v_mul_lo_u32 v64, v68, s19
	.loc	1 68 25                         ; persistent_matmul.py:68:25
	v_add_co_u32 v82, s0, s20, v65
	s_wait_alu depctr_va_sdst(0)
	s_delay_alu instid0(VALU_DEP_3) | instskip(NEXT) | instid1(VALU_DEP_3)
	v_add_co_ci_u32_e64 v83, null, s21, v66, s0
	.loc	1 68 56                         ; persistent_matmul.py:68:56
	v_ashrrev_i32_e32 v65, 31, v64
	.loc	1 69 43 is_stmt 1               ; persistent_matmul.py:69:43
	s_and_b32 s0, s15, vcc_lo
	.loc	1 74 25                         ; persistent_matmul.py:74:25
	s_wait_alu depctr_sa_sdst(0)
	s_and_saveexec_b32 s1, s0
	s_cbranch_execz .LBB0_399
; %bb.398:
	.loc	1 0 25 is_stmt 0                ; persistent_matmul.py:0:25
	v_lshlrev_b64_e32 v[66:67], 1, v[64:65]
	v_cvt_f16_f32_e32 v56, v56
	s_delay_alu instid0(VALU_DEP_2) | instskip(SKIP_1) | instid1(VALU_DEP_3)
	v_add_co_u32 v66, s0, v82, v66
	s_wait_alu depctr_va_sdst(0)
	v_add_co_ci_u32_e64 v67, null, v83, v67, s0
	.loc	1 74 25                         ; persistent_matmul.py:74:25
	global_store_b16 v[66:67], v56, off
.LBB0_399:
	.loc	1 0 25                          ; persistent_matmul.py:0:25
	s_wait_alu depctr_sa_sdst(0)
	s_or_b32 exec_lo, exec_lo, s1
	.loc	1 67 41 is_stmt 1               ; persistent_matmul.py:67:41
	v_or_b32_e32 v56, s16, v134
	s_delay_alu instid0(VALU_DEP_1)
	.loc	1 68 68                         ; persistent_matmul.py:68:68
	v_mul_lo_u32 v66, v56, s19
	.loc	1 69 62                         ; persistent_matmul.py:69:62
	v_cmp_gt_i32_e64 s0, s23, v56
	.loc	1 69 43 is_stmt 0               ; persistent_matmul.py:69:43
	s_and_b32 s1, s15, s0
	.loc	1 68 56 is_stmt 1               ; persistent_matmul.py:68:56
	v_ashrrev_i32_e32 v67, 31, v66
	.loc	1 74 25                         ; persistent_matmul.py:74:25
	s_wait_alu depctr_sa_sdst(0)
	s_and_saveexec_b32 s2, s1
	s_cbranch_execz .LBB0_401
; %bb.400:
	.loc	1 0 25 is_stmt 0                ; persistent_matmul.py:0:25
	s_delay_alu instid0(VALU_DEP_1) | instskip(SKIP_1) | instid1(VALU_DEP_2)
	.loc	1 68 56 is_stmt 1               ; persistent_matmul.py:68:56
	v_lshlrev_b64_e32 v[68:69], 1, v[66:67]
	.loc	1 73 31                         ; persistent_matmul.py:73:31
	v_cvt_f16_f32_e32 v56, v57
	.loc	1 68 56                         ; persistent_matmul.py:68:56
	v_add_co_u32 v68, s1, v82, v68
	s_wait_alu depctr_va_sdst(0)
	s_delay_alu instid0(VALU_DEP_3)
	v_add_co_ci_u32_e64 v69, null, v83, v69, s1
	.loc	1 74 25                         ; persistent_matmul.py:74:25
	global_store_b16 v[68:69], v56, off
.LBB0_401:
	.loc	1 0 25 is_stmt 0                ; persistent_matmul.py:0:25
	s_wait_alu depctr_sa_sdst(0)
	s_or_b32 exec_lo, exec_lo, s2
	.loc	1 67 41 is_stmt 1               ; persistent_matmul.py:67:41
	v_or_b32_e32 v57, s16, v135
	s_delay_alu instid0(VALU_DEP_1)
	.loc	1 68 68                         ; persistent_matmul.py:68:68
	v_mul_lo_u32 v56, v57, s19
	.loc	1 69 62                         ; persistent_matmul.py:69:62
	v_cmp_gt_i32_e64 s1, s23, v57
	.loc	1 69 43 is_stmt 0               ; persistent_matmul.py:69:43
	s_and_b32 s2, s15, s1
	.loc	1 68 56 is_stmt 1               ; persistent_matmul.py:68:56
	v_ashrrev_i32_e32 v57, 31, v56
	.loc	1 74 25                         ; persistent_matmul.py:74:25
	s_wait_alu depctr_sa_sdst(0)
	s_and_saveexec_b32 s3, s2
	s_cbranch_execz .LBB0_403
; %bb.402:
	.loc	1 0 25 is_stmt 0                ; persistent_matmul.py:0:25
	s_delay_alu instid0(VALU_DEP_1) | instskip(SKIP_1) | instid1(VALU_DEP_2)
	.loc	1 68 56 is_stmt 1               ; persistent_matmul.py:68:56
	v_lshlrev_b64_e32 v[68:69], 1, v[56:57]
	.loc	1 73 31                         ; persistent_matmul.py:73:31
	v_cvt_f16_f32_e32 v58, v58
	.loc	1 68 56                         ; persistent_matmul.py:68:56
	v_add_co_u32 v68, s2, v82, v68
	s_wait_alu depctr_va_sdst(0)
	s_delay_alu instid0(VALU_DEP_3)
	v_add_co_ci_u32_e64 v69, null, v83, v69, s2
	.loc	1 74 25                         ; persistent_matmul.py:74:25
	global_store_b16 v[68:69], v58, off
.LBB0_403:
	.loc	1 0 25 is_stmt 0                ; persistent_matmul.py:0:25
	;; [unrolled: 33-line block ×14, first 2 shown]
	s_or_b32 exec_lo, exec_lo, s24
	.loc	1 67 41 is_stmt 1               ; persistent_matmul.py:67:41
	v_or_b32_e32 v54, s16, v148
	s_delay_alu instid0(VALU_DEP_1)
	.loc	1 68 68                         ; persistent_matmul.py:68:68
	v_mul_lo_u32 v80, v54, s19
	.loc	1 69 62                         ; persistent_matmul.py:69:62
	v_cmp_gt_i32_e64 s14, s23, v54
	.loc	1 69 43 is_stmt 0               ; persistent_matmul.py:69:43
	s_and_b32 s15, s15, s14
	.loc	1 68 56 is_stmt 1               ; persistent_matmul.py:68:56
	v_ashrrev_i32_e32 v81, 31, v80
	.loc	1 74 25                         ; persistent_matmul.py:74:25
	s_wait_alu depctr_sa_sdst(0)
	s_and_saveexec_b32 s16, s15
	s_cbranch_execz .LBB0_429
; %bb.428:
	.loc	1 0 25 is_stmt 0                ; persistent_matmul.py:0:25
	s_delay_alu instid0(VALU_DEP_1) | instskip(SKIP_1) | instid1(VALU_DEP_2)
	.loc	1 68 56 is_stmt 1               ; persistent_matmul.py:68:56
	v_lshlrev_b64_e32 v[84:85], 1, v[80:81]
	.loc	1 73 31                         ; persistent_matmul.py:73:31
	v_cvt_f16_f32_e32 v54, v55
	.loc	1 68 56                         ; persistent_matmul.py:68:56
	v_add_co_u32 v82, s15, v82, v84
	s_wait_alu depctr_va_sdst(0)
	s_delay_alu instid0(VALU_DEP_3)
	v_add_co_ci_u32_e64 v83, null, v83, v85, s15
	.loc	1 74 25                         ; persistent_matmul.py:74:25
	global_store_b16 v[82:83], v54, off
.LBB0_429:
	.loc	1 0 25 is_stmt 0                ; persistent_matmul.py:0:25
	s_wait_alu depctr_sa_sdst(0)
	s_or_b32 exec_lo, exec_lo, s16
	.loc	1 66 41 is_stmt 1               ; persistent_matmul.py:66:41
	v_or_b32_e32 v82, s17, v131
	s_delay_alu instid0(VALU_DEP_1) | instskip(SKIP_1) | instid1(VALU_DEP_2)
	.loc	1 68 37                         ; persistent_matmul.py:68:37
	v_mul_lo_u32 v54, v82, s18
	.loc	1 69 37                         ; persistent_matmul.py:69:37
	v_cmp_gt_i32_e64 s15, s22, v82
	.loc	1 68 25                         ; persistent_matmul.py:68:25
	v_ashrrev_i32_e32 v55, 31, v54
	s_delay_alu instid0(VALU_DEP_1) | instskip(NEXT) | instid1(VALU_DEP_1)
	v_lshlrev_b64_e32 v[54:55], 1, v[54:55]
	v_add_co_u32 v54, s16, s20, v54
	s_wait_alu depctr_va_sdst(0)
	s_delay_alu instid0(VALU_DEP_2)
	v_add_co_ci_u32_e64 v55, null, s21, v55, s16
	.loc	1 69 43                         ; persistent_matmul.py:69:43
	s_and_b32 s16, s15, vcc_lo
	.loc	1 74 25                         ; persistent_matmul.py:74:25
	s_wait_alu depctr_sa_sdst(0)
	s_and_saveexec_b32 s24, s16
	s_cbranch_execnz .LBB0_615
; %bb.430:
	.loc	1 0 25 is_stmt 0                ; persistent_matmul.py:0:25
	s_or_b32 exec_lo, exec_lo, s24
	.loc	1 69 43 is_stmt 1               ; persistent_matmul.py:69:43
	s_and_b32 s16, s15, s0
	.loc	1 74 25                         ; persistent_matmul.py:74:25
	s_wait_alu depctr_sa_sdst(0)
	s_and_saveexec_b32 s24, s16
	s_cbranch_execnz .LBB0_616
.LBB0_431:
	.loc	1 0 25 is_stmt 0                ; persistent_matmul.py:0:25
	s_or_b32 exec_lo, exec_lo, s24
	.loc	1 69 43 is_stmt 1               ; persistent_matmul.py:69:43
	s_and_b32 s16, s15, s1
	.loc	1 74 25                         ; persistent_matmul.py:74:25
	s_wait_alu depctr_sa_sdst(0)
	s_and_saveexec_b32 s24, s16
	s_cbranch_execnz .LBB0_617
.LBB0_432:
	.loc	1 0 25 is_stmt 0                ; persistent_matmul.py:0:25
	s_or_b32 exec_lo, exec_lo, s24
	.loc	1 69 43 is_stmt 1               ; persistent_matmul.py:69:43
	s_and_b32 s16, s15, s2
	.loc	1 74 25                         ; persistent_matmul.py:74:25
	s_wait_alu depctr_sa_sdst(0)
	s_and_saveexec_b32 s24, s16
	s_cbranch_execnz .LBB0_618
.LBB0_433:
	.loc	1 0 25 is_stmt 0                ; persistent_matmul.py:0:25
	s_or_b32 exec_lo, exec_lo, s24
	.loc	1 69 43 is_stmt 1               ; persistent_matmul.py:69:43
	s_and_b32 s16, s15, s3
	.loc	1 74 25                         ; persistent_matmul.py:74:25
	s_wait_alu depctr_sa_sdst(0)
	s_and_saveexec_b32 s24, s16
	s_cbranch_execnz .LBB0_619
.LBB0_434:
	.loc	1 0 25 is_stmt 0                ; persistent_matmul.py:0:25
	s_or_b32 exec_lo, exec_lo, s24
	.loc	1 69 43 is_stmt 1               ; persistent_matmul.py:69:43
	s_and_b32 s16, s15, s4
	.loc	1 74 25                         ; persistent_matmul.py:74:25
	s_wait_alu depctr_sa_sdst(0)
	s_and_saveexec_b32 s24, s16
	s_cbranch_execnz .LBB0_620
.LBB0_435:
	.loc	1 0 25 is_stmt 0                ; persistent_matmul.py:0:25
	s_or_b32 exec_lo, exec_lo, s24
	.loc	1 69 43 is_stmt 1               ; persistent_matmul.py:69:43
	s_and_b32 s16, s15, s5
	.loc	1 74 25                         ; persistent_matmul.py:74:25
	s_wait_alu depctr_sa_sdst(0)
	s_and_saveexec_b32 s24, s16
	s_cbranch_execnz .LBB0_621
.LBB0_436:
	.loc	1 0 25 is_stmt 0                ; persistent_matmul.py:0:25
	s_or_b32 exec_lo, exec_lo, s24
	.loc	1 69 43 is_stmt 1               ; persistent_matmul.py:69:43
	s_and_b32 s16, s15, s6
	.loc	1 74 25                         ; persistent_matmul.py:74:25
	s_wait_alu depctr_sa_sdst(0)
	s_and_saveexec_b32 s24, s16
	s_cbranch_execnz .LBB0_622
.LBB0_437:
	.loc	1 0 25 is_stmt 0                ; persistent_matmul.py:0:25
	s_or_b32 exec_lo, exec_lo, s24
	.loc	1 69 43 is_stmt 1               ; persistent_matmul.py:69:43
	s_and_b32 s16, s15, s7
	.loc	1 74 25                         ; persistent_matmul.py:74:25
	s_wait_alu depctr_sa_sdst(0)
	s_and_saveexec_b32 s24, s16
	s_cbranch_execnz .LBB0_623
.LBB0_438:
	.loc	1 0 25 is_stmt 0                ; persistent_matmul.py:0:25
	s_or_b32 exec_lo, exec_lo, s24
	.loc	1 69 43 is_stmt 1               ; persistent_matmul.py:69:43
	s_and_b32 s16, s15, s8
	.loc	1 74 25                         ; persistent_matmul.py:74:25
	s_wait_alu depctr_sa_sdst(0)
	s_and_saveexec_b32 s24, s16
	s_cbranch_execnz .LBB0_624
.LBB0_439:
	.loc	1 0 25 is_stmt 0                ; persistent_matmul.py:0:25
	s_or_b32 exec_lo, exec_lo, s24
	.loc	1 69 43 is_stmt 1               ; persistent_matmul.py:69:43
	s_and_b32 s16, s15, s9
	.loc	1 74 25                         ; persistent_matmul.py:74:25
	s_wait_alu depctr_sa_sdst(0)
	s_and_saveexec_b32 s24, s16
	s_cbranch_execnz .LBB0_625
.LBB0_440:
	.loc	1 0 25 is_stmt 0                ; persistent_matmul.py:0:25
	s_or_b32 exec_lo, exec_lo, s24
	.loc	1 69 43 is_stmt 1               ; persistent_matmul.py:69:43
	s_and_b32 s16, s15, s10
	.loc	1 74 25                         ; persistent_matmul.py:74:25
	s_wait_alu depctr_sa_sdst(0)
	s_and_saveexec_b32 s24, s16
	s_cbranch_execnz .LBB0_626
.LBB0_441:
	.loc	1 0 25 is_stmt 0                ; persistent_matmul.py:0:25
	s_or_b32 exec_lo, exec_lo, s24
	.loc	1 69 43 is_stmt 1               ; persistent_matmul.py:69:43
	s_and_b32 s16, s15, s11
	.loc	1 74 25                         ; persistent_matmul.py:74:25
	s_wait_alu depctr_sa_sdst(0)
	s_and_saveexec_b32 s24, s16
	s_cbranch_execnz .LBB0_627
.LBB0_442:
	.loc	1 0 25 is_stmt 0                ; persistent_matmul.py:0:25
	s_or_b32 exec_lo, exec_lo, s24
	.loc	1 69 43 is_stmt 1               ; persistent_matmul.py:69:43
	s_and_b32 s16, s15, s12
	.loc	1 74 25                         ; persistent_matmul.py:74:25
	s_wait_alu depctr_sa_sdst(0)
	s_and_saveexec_b32 s24, s16
	s_cbranch_execnz .LBB0_628
.LBB0_443:
	.loc	1 0 25 is_stmt 0                ; persistent_matmul.py:0:25
	s_or_b32 exec_lo, exec_lo, s24
	.loc	1 69 43 is_stmt 1               ; persistent_matmul.py:69:43
	s_and_b32 s16, s15, s13
	.loc	1 74 25                         ; persistent_matmul.py:74:25
	s_wait_alu depctr_sa_sdst(0)
	s_and_saveexec_b32 s24, s16
	s_cbranch_execnz .LBB0_629
.LBB0_444:
	.loc	1 0 25 is_stmt 0                ; persistent_matmul.py:0:25
	s_or_b32 exec_lo, exec_lo, s24
	.loc	1 69 43 is_stmt 1               ; persistent_matmul.py:69:43
	s_and_b32 s15, s15, s14
	.loc	1 74 25                         ; persistent_matmul.py:74:25
	s_wait_alu depctr_sa_sdst(0)
	s_and_saveexec_b32 s16, s15
	s_cbranch_execz .LBB0_446
.LBB0_445:
	.loc	1 68 56                         ; persistent_matmul.py:68:56
	v_lshlrev_b64_e32 v[32:33], 1, v[80:81]
	.loc	1 73 31                         ; persistent_matmul.py:73:31
	v_cvt_f16_f32_e32 v34, v39
	s_delay_alu instid0(VALU_DEP_2) | instskip(SKIP_1) | instid1(VALU_DEP_3)
	.loc	1 68 56                         ; persistent_matmul.py:68:56
	v_add_co_u32 v32, s15, v54, v32
	s_wait_alu depctr_va_sdst(0)
	v_add_co_ci_u32_e64 v33, null, v55, v33, s15
	.loc	1 74 25                         ; persistent_matmul.py:74:25
	global_store_b16 v[32:33], v34, off
.LBB0_446:
	.loc	1 0 25 is_stmt 0                ; persistent_matmul.py:0:25
	s_wait_alu depctr_sa_sdst(0)
	s_or_b32 exec_lo, exec_lo, s16
	.loc	1 66 41 is_stmt 1               ; persistent_matmul.py:66:41
	v_or_b32_e32 v34, s17, v132
	s_delay_alu instid0(VALU_DEP_1) | instskip(SKIP_1) | instid1(VALU_DEP_2)
	.loc	1 68 37                         ; persistent_matmul.py:68:37
	v_mul_lo_u32 v32, v34, s18
	.loc	1 69 37                         ; persistent_matmul.py:69:37
	v_cmp_gt_i32_e64 s15, s22, v34
	.loc	1 68 25                         ; persistent_matmul.py:68:25
	v_ashrrev_i32_e32 v33, 31, v32
	s_delay_alu instid0(VALU_DEP_1) | instskip(NEXT) | instid1(VALU_DEP_1)
	v_lshlrev_b64_e32 v[32:33], 1, v[32:33]
	v_add_co_u32 v32, s16, s20, v32
	s_wait_alu depctr_va_sdst(0)
	s_delay_alu instid0(VALU_DEP_2)
	v_add_co_ci_u32_e64 v33, null, s21, v33, s16
	.loc	1 69 43                         ; persistent_matmul.py:69:43
	s_and_b32 s16, s15, vcc_lo
	.loc	1 74 25                         ; persistent_matmul.py:74:25
	s_wait_alu depctr_sa_sdst(0)
	s_and_saveexec_b32 s24, s16
	s_cbranch_execnz .LBB0_630
; %bb.447:
	.loc	1 0 25 is_stmt 0                ; persistent_matmul.py:0:25
	s_or_b32 exec_lo, exec_lo, s24
	.loc	1 69 43 is_stmt 1               ; persistent_matmul.py:69:43
	s_and_b32 s16, s15, s0
	.loc	1 74 25                         ; persistent_matmul.py:74:25
	s_wait_alu depctr_sa_sdst(0)
	s_and_saveexec_b32 s24, s16
	s_cbranch_execnz .LBB0_631
.LBB0_448:
	.loc	1 0 25 is_stmt 0                ; persistent_matmul.py:0:25
	s_or_b32 exec_lo, exec_lo, s24
	.loc	1 69 43 is_stmt 1               ; persistent_matmul.py:69:43
	s_and_b32 s16, s15, s1
	.loc	1 74 25                         ; persistent_matmul.py:74:25
	s_wait_alu depctr_sa_sdst(0)
	s_and_saveexec_b32 s24, s16
	s_cbranch_execnz .LBB0_632
.LBB0_449:
	.loc	1 0 25 is_stmt 0                ; persistent_matmul.py:0:25
	s_or_b32 exec_lo, exec_lo, s24
	.loc	1 69 43 is_stmt 1               ; persistent_matmul.py:69:43
	s_and_b32 s16, s15, s2
	.loc	1 74 25                         ; persistent_matmul.py:74:25
	s_wait_alu depctr_sa_sdst(0)
	s_and_saveexec_b32 s24, s16
	s_cbranch_execnz .LBB0_633
.LBB0_450:
	.loc	1 0 25 is_stmt 0                ; persistent_matmul.py:0:25
	s_or_b32 exec_lo, exec_lo, s24
	.loc	1 69 43 is_stmt 1               ; persistent_matmul.py:69:43
	s_and_b32 s16, s15, s3
	.loc	1 74 25                         ; persistent_matmul.py:74:25
	s_wait_alu depctr_sa_sdst(0)
	s_and_saveexec_b32 s24, s16
	s_cbranch_execnz .LBB0_634
.LBB0_451:
	.loc	1 0 25 is_stmt 0                ; persistent_matmul.py:0:25
	s_or_b32 exec_lo, exec_lo, s24
	.loc	1 69 43 is_stmt 1               ; persistent_matmul.py:69:43
	s_and_b32 s16, s15, s4
	.loc	1 74 25                         ; persistent_matmul.py:74:25
	s_wait_alu depctr_sa_sdst(0)
	s_and_saveexec_b32 s24, s16
	s_cbranch_execnz .LBB0_635
.LBB0_452:
	.loc	1 0 25 is_stmt 0                ; persistent_matmul.py:0:25
	s_or_b32 exec_lo, exec_lo, s24
	.loc	1 69 43 is_stmt 1               ; persistent_matmul.py:69:43
	s_and_b32 s16, s15, s5
	.loc	1 74 25                         ; persistent_matmul.py:74:25
	s_wait_alu depctr_sa_sdst(0)
	s_and_saveexec_b32 s24, s16
	s_cbranch_execnz .LBB0_636
.LBB0_453:
	.loc	1 0 25 is_stmt 0                ; persistent_matmul.py:0:25
	s_or_b32 exec_lo, exec_lo, s24
	.loc	1 69 43 is_stmt 1               ; persistent_matmul.py:69:43
	s_and_b32 s16, s15, s6
	.loc	1 74 25                         ; persistent_matmul.py:74:25
	s_wait_alu depctr_sa_sdst(0)
	s_and_saveexec_b32 s24, s16
	s_cbranch_execnz .LBB0_637
.LBB0_454:
	.loc	1 0 25 is_stmt 0                ; persistent_matmul.py:0:25
	s_or_b32 exec_lo, exec_lo, s24
	.loc	1 69 43 is_stmt 1               ; persistent_matmul.py:69:43
	s_and_b32 s16, s15, s7
	.loc	1 74 25                         ; persistent_matmul.py:74:25
	s_wait_alu depctr_sa_sdst(0)
	s_and_saveexec_b32 s24, s16
	s_cbranch_execnz .LBB0_638
.LBB0_455:
	.loc	1 0 25 is_stmt 0                ; persistent_matmul.py:0:25
	s_or_b32 exec_lo, exec_lo, s24
	.loc	1 69 43 is_stmt 1               ; persistent_matmul.py:69:43
	s_and_b32 s16, s15, s8
	.loc	1 74 25                         ; persistent_matmul.py:74:25
	s_wait_alu depctr_sa_sdst(0)
	s_and_saveexec_b32 s24, s16
	s_cbranch_execnz .LBB0_639
.LBB0_456:
	.loc	1 0 25 is_stmt 0                ; persistent_matmul.py:0:25
	s_or_b32 exec_lo, exec_lo, s24
	.loc	1 69 43 is_stmt 1               ; persistent_matmul.py:69:43
	s_and_b32 s16, s15, s9
	.loc	1 74 25                         ; persistent_matmul.py:74:25
	s_wait_alu depctr_sa_sdst(0)
	s_and_saveexec_b32 s24, s16
	s_cbranch_execnz .LBB0_640
.LBB0_457:
	.loc	1 0 25 is_stmt 0                ; persistent_matmul.py:0:25
	s_or_b32 exec_lo, exec_lo, s24
	.loc	1 69 43 is_stmt 1               ; persistent_matmul.py:69:43
	s_and_b32 s16, s15, s10
	.loc	1 74 25                         ; persistent_matmul.py:74:25
	s_wait_alu depctr_sa_sdst(0)
	s_and_saveexec_b32 s24, s16
	s_cbranch_execnz .LBB0_641
.LBB0_458:
	.loc	1 0 25 is_stmt 0                ; persistent_matmul.py:0:25
	s_or_b32 exec_lo, exec_lo, s24
	.loc	1 69 43 is_stmt 1               ; persistent_matmul.py:69:43
	s_and_b32 s16, s15, s11
	.loc	1 74 25                         ; persistent_matmul.py:74:25
	s_wait_alu depctr_sa_sdst(0)
	s_and_saveexec_b32 s24, s16
	s_cbranch_execnz .LBB0_642
.LBB0_459:
	.loc	1 0 25 is_stmt 0                ; persistent_matmul.py:0:25
	s_or_b32 exec_lo, exec_lo, s24
	.loc	1 69 43 is_stmt 1               ; persistent_matmul.py:69:43
	s_and_b32 s16, s15, s12
	.loc	1 74 25                         ; persistent_matmul.py:74:25
	s_wait_alu depctr_sa_sdst(0)
	s_and_saveexec_b32 s24, s16
	s_cbranch_execnz .LBB0_643
.LBB0_460:
	.loc	1 0 25 is_stmt 0                ; persistent_matmul.py:0:25
	s_or_b32 exec_lo, exec_lo, s24
	.loc	1 69 43 is_stmt 1               ; persistent_matmul.py:69:43
	s_and_b32 s16, s15, s13
	.loc	1 74 25                         ; persistent_matmul.py:74:25
	s_wait_alu depctr_sa_sdst(0)
	s_and_saveexec_b32 s24, s16
	s_cbranch_execnz .LBB0_644
.LBB0_461:
	.loc	1 0 25 is_stmt 0                ; persistent_matmul.py:0:25
	s_or_b32 exec_lo, exec_lo, s24
	.loc	1 69 43 is_stmt 1               ; persistent_matmul.py:69:43
	s_and_b32 s15, s15, s14
	.loc	1 74 25                         ; persistent_matmul.py:74:25
	s_wait_alu depctr_sa_sdst(0)
	s_and_saveexec_b32 s16, s15
	s_cbranch_execz .LBB0_463
.LBB0_462:
	.loc	1 68 56                         ; persistent_matmul.py:68:56
	v_lshlrev_b64_e32 v[16:17], 1, v[80:81]
	.loc	1 73 31                         ; persistent_matmul.py:73:31
	v_cvt_f16_f32_e32 v18, v23
	s_delay_alu instid0(VALU_DEP_2) | instskip(SKIP_1) | instid1(VALU_DEP_3)
	.loc	1 68 56                         ; persistent_matmul.py:68:56
	v_add_co_u32 v16, s15, v32, v16
	s_wait_alu depctr_va_sdst(0)
	v_add_co_ci_u32_e64 v17, null, v33, v17, s15
	.loc	1 74 25                         ; persistent_matmul.py:74:25
	global_store_b16 v[16:17], v18, off
.LBB0_463:
	.loc	1 0 25 is_stmt 0                ; persistent_matmul.py:0:25
	s_wait_alu depctr_sa_sdst(0)
	s_or_b32 exec_lo, exec_lo, s16
	.loc	1 66 41 is_stmt 1               ; persistent_matmul.py:66:41
	v_or_b32_e32 v18, s17, v133
	s_delay_alu instid0(VALU_DEP_1) | instskip(SKIP_3) | instid1(VALU_DEP_1)
	.loc	1 68 37                         ; persistent_matmul.py:68:37
	v_mul_lo_u32 v16, v18, s18
	.loc	1 69 37                         ; persistent_matmul.py:69:37
	v_cmp_gt_i32_e64 s15, s22, v18
	.loc	1 69 43 is_stmt 0               ; persistent_matmul.py:69:43
	s_and_b32 s17, s15, vcc_lo
	.loc	1 68 25 is_stmt 1               ; persistent_matmul.py:68:25
	v_ashrrev_i32_e32 v17, 31, v16
	v_lshlrev_b64_e32 v[16:17], 1, v[16:17]
	s_delay_alu instid0(VALU_DEP_1) | instskip(SKIP_1) | instid1(VALU_DEP_2)
	v_add_co_u32 v16, s16, s20, v16
	s_wait_alu depctr_va_sdst(0)
	v_add_co_ci_u32_e64 v17, null, s21, v17, s16
	.loc	1 74 25                         ; persistent_matmul.py:74:25
	s_wait_alu depctr_sa_sdst(0)
	s_and_saveexec_b32 s16, s17
	s_cbranch_execnz .LBB0_645
; %bb.464:
	.loc	1 0 25 is_stmt 0                ; persistent_matmul.py:0:25
	s_wait_alu depctr_sa_sdst(0)
	s_or_b32 exec_lo, exec_lo, s16
	.loc	1 69 43 is_stmt 1               ; persistent_matmul.py:69:43
	s_and_b32 s16, s15, s0
	.loc	1 74 25                         ; persistent_matmul.py:74:25
	s_wait_alu depctr_sa_sdst(0)
	s_and_saveexec_b32 s0, s16
	s_cbranch_execnz .LBB0_646
.LBB0_465:
	.loc	1 0 25 is_stmt 0                ; persistent_matmul.py:0:25
	s_wait_alu depctr_sa_sdst(0)
	s_or_b32 exec_lo, exec_lo, s0
	.loc	1 69 43 is_stmt 1               ; persistent_matmul.py:69:43
	s_and_b32 s1, s15, s1
	.loc	1 74 25                         ; persistent_matmul.py:74:25
	s_wait_alu depctr_sa_sdst(0)
	s_and_saveexec_b32 s0, s1
	s_cbranch_execnz .LBB0_647
.LBB0_466:
	.loc	1 0 25 is_stmt 0                ; persistent_matmul.py:0:25
	s_wait_alu depctr_sa_sdst(0)
	s_or_b32 exec_lo, exec_lo, s0
	.loc	1 69 43 is_stmt 1               ; persistent_matmul.py:69:43
	s_and_b32 s1, s15, s2
	.loc	1 74 25                         ; persistent_matmul.py:74:25
	s_wait_alu depctr_sa_sdst(0)
	s_and_saveexec_b32 s0, s1
	s_cbranch_execnz .LBB0_648
.LBB0_467:
	.loc	1 0 25 is_stmt 0                ; persistent_matmul.py:0:25
	s_wait_alu depctr_sa_sdst(0)
	s_or_b32 exec_lo, exec_lo, s0
	.loc	1 69 43 is_stmt 1               ; persistent_matmul.py:69:43
	s_and_b32 s1, s15, s3
	.loc	1 74 25                         ; persistent_matmul.py:74:25
	s_wait_alu depctr_sa_sdst(0)
	s_and_saveexec_b32 s0, s1
	s_cbranch_execnz .LBB0_649
.LBB0_468:
	.loc	1 0 25 is_stmt 0                ; persistent_matmul.py:0:25
	s_wait_alu depctr_sa_sdst(0)
	s_or_b32 exec_lo, exec_lo, s0
	.loc	1 69 43 is_stmt 1               ; persistent_matmul.py:69:43
	s_and_b32 s1, s15, s4
	.loc	1 74 25                         ; persistent_matmul.py:74:25
	s_wait_alu depctr_sa_sdst(0)
	s_and_saveexec_b32 s0, s1
	s_cbranch_execnz .LBB0_650
.LBB0_469:
	.loc	1 0 25 is_stmt 0                ; persistent_matmul.py:0:25
	s_wait_alu depctr_sa_sdst(0)
	s_or_b32 exec_lo, exec_lo, s0
	.loc	1 69 43 is_stmt 1               ; persistent_matmul.py:69:43
	s_and_b32 s1, s15, s5
	.loc	1 74 25                         ; persistent_matmul.py:74:25
	s_wait_alu depctr_sa_sdst(0)
	s_and_saveexec_b32 s0, s1
	s_cbranch_execnz .LBB0_651
.LBB0_470:
	.loc	1 0 25 is_stmt 0                ; persistent_matmul.py:0:25
	s_wait_alu depctr_sa_sdst(0)
	s_or_b32 exec_lo, exec_lo, s0
	.loc	1 69 43 is_stmt 1               ; persistent_matmul.py:69:43
	s_and_b32 s1, s15, s6
	.loc	1 74 25                         ; persistent_matmul.py:74:25
	s_wait_alu depctr_sa_sdst(0)
	s_and_saveexec_b32 s0, s1
	s_cbranch_execnz .LBB0_652
.LBB0_471:
	.loc	1 0 25 is_stmt 0                ; persistent_matmul.py:0:25
	s_wait_alu depctr_sa_sdst(0)
	s_or_b32 exec_lo, exec_lo, s0
	.loc	1 69 43 is_stmt 1               ; persistent_matmul.py:69:43
	s_and_b32 s1, s15, s7
	.loc	1 74 25                         ; persistent_matmul.py:74:25
	s_wait_alu depctr_sa_sdst(0)
	s_and_saveexec_b32 s0, s1
	s_cbranch_execnz .LBB0_653
.LBB0_472:
	.loc	1 0 25 is_stmt 0                ; persistent_matmul.py:0:25
	s_wait_alu depctr_sa_sdst(0)
	s_or_b32 exec_lo, exec_lo, s0
	.loc	1 69 43 is_stmt 1               ; persistent_matmul.py:69:43
	s_and_b32 s1, s15, s8
	.loc	1 74 25                         ; persistent_matmul.py:74:25
	s_wait_alu depctr_sa_sdst(0)
	s_and_saveexec_b32 s0, s1
	s_cbranch_execnz .LBB0_654
.LBB0_473:
	.loc	1 0 25 is_stmt 0                ; persistent_matmul.py:0:25
	s_wait_alu depctr_sa_sdst(0)
	s_or_b32 exec_lo, exec_lo, s0
	.loc	1 69 43 is_stmt 1               ; persistent_matmul.py:69:43
	s_and_b32 s1, s15, s9
	.loc	1 74 25                         ; persistent_matmul.py:74:25
	s_wait_alu depctr_sa_sdst(0)
	s_and_saveexec_b32 s0, s1
	s_cbranch_execnz .LBB0_655
.LBB0_474:
	.loc	1 0 25 is_stmt 0                ; persistent_matmul.py:0:25
	s_wait_alu depctr_sa_sdst(0)
	s_or_b32 exec_lo, exec_lo, s0
	.loc	1 69 43 is_stmt 1               ; persistent_matmul.py:69:43
	s_and_b32 s1, s15, s10
	.loc	1 74 25                         ; persistent_matmul.py:74:25
	s_wait_alu depctr_sa_sdst(0)
	s_and_saveexec_b32 s0, s1
	s_cbranch_execnz .LBB0_656
.LBB0_475:
	.loc	1 0 25 is_stmt 0                ; persistent_matmul.py:0:25
	s_wait_alu depctr_sa_sdst(0)
	s_or_b32 exec_lo, exec_lo, s0
	.loc	1 69 43 is_stmt 1               ; persistent_matmul.py:69:43
	s_and_b32 s1, s15, s11
	.loc	1 74 25                         ; persistent_matmul.py:74:25
	s_wait_alu depctr_sa_sdst(0)
	s_and_saveexec_b32 s0, s1
	s_cbranch_execnz .LBB0_657
.LBB0_476:
	.loc	1 0 25 is_stmt 0                ; persistent_matmul.py:0:25
	s_wait_alu depctr_sa_sdst(0)
	s_or_b32 exec_lo, exec_lo, s0
	.loc	1 69 43 is_stmt 1               ; persistent_matmul.py:69:43
	s_and_b32 s1, s15, s12
	.loc	1 74 25                         ; persistent_matmul.py:74:25
	s_wait_alu depctr_sa_sdst(0)
	s_and_saveexec_b32 s0, s1
	s_cbranch_execnz .LBB0_658
.LBB0_477:
	.loc	1 0 25 is_stmt 0                ; persistent_matmul.py:0:25
	s_wait_alu depctr_sa_sdst(0)
	s_or_b32 exec_lo, exec_lo, s0
	.loc	1 69 43 is_stmt 1               ; persistent_matmul.py:69:43
	s_and_b32 s1, s15, s13
	.loc	1 74 25                         ; persistent_matmul.py:74:25
	s_wait_alu depctr_sa_sdst(0)
	s_and_saveexec_b32 s0, s1
	s_cbranch_execnz .LBB0_659
.LBB0_478:
	.loc	1 0 25 is_stmt 0                ; persistent_matmul.py:0:25
	s_wait_alu depctr_sa_sdst(0)
	s_or_b32 exec_lo, exec_lo, s0
	.loc	1 69 43 is_stmt 1               ; persistent_matmul.py:69:43
	s_and_b32 s1, s15, s14
	.loc	1 74 25                         ; persistent_matmul.py:74:25
	s_wait_alu depctr_sa_sdst(0)
	s_and_saveexec_b32 s0, s1
	s_cbranch_execz .LBB0_480
.LBB0_479:
	.loc	1 68 56                         ; persistent_matmul.py:68:56
	v_lshlrev_b64_e32 v[0:1], 1, v[80:81]
	.loc	1 73 31                         ; persistent_matmul.py:73:31
	v_cvt_f16_f32_e32 v2, v7
	s_delay_alu instid0(VALU_DEP_2) | instskip(SKIP_1) | instid1(VALU_DEP_3)
	.loc	1 68 56                         ; persistent_matmul.py:68:56
	v_add_co_u32 v0, vcc_lo, v16, v0
	s_wait_alu depctr_va_vcc(0)
	v_add_co_ci_u32_e64 v1, null, v17, v1, vcc_lo
	.loc	1 74 25                         ; persistent_matmul.py:74:25
	global_store_b16 v[0:1], v2, off
.LBB0_480:                              ; %Flow
	.loc	1 0 25 is_stmt 0                ; persistent_matmul.py:0:25
	s_wait_alu depctr_sa_sdst(0)
	s_or_b32 exec_lo, exec_lo, s0
.LBB0_481:                              ; %Flow286
	s_mov_b32 s2, 0
.LBB0_482:                              ; %Flow292
	s_wait_alu depctr_sa_sdst(0)
	s_and_b32 vcc_lo, exec_lo, s2
	s_wait_alu depctr_sa_sdst(0)
	s_cbranch_vccz .LBB0_614
; %bb.483:                              ; %.preheader
	.loc	1 43 59 is_stmt 1               ; persistent_matmul.py:43:59
	s_cmp_le_i32 s49, ttmp9
	s_cbranch_scc1 .LBB0_614
; %bb.484:                              ; %.lr.ph9.preheader
	.loc	1 0 59 is_stmt 0                ; persistent_matmul.py:0:59
	s_abs_i32 s27, s35
	v_mov_b32_e32 v32, 0
	s_wait_alu depctr_sa_sdst(0)
	s_cvt_f32_u32 s0, s27
	s_sub_co_i32 s1, 0, s27
	s_mov_b32 s17, 0
	s_wait_alu depctr_sa_sdst(0)
	s_mov_b32 s26, ttmp9
	v_rcp_iflag_f32_e32 v0, s0
	s_ashr_i32 s28, s35, 31
	s_mov_b32 s25, s17
.Ltmp89:
	.loc	1 14 44 is_stmt 1               ; persistent_matmul.py:14:44 @[ persistent_matmul.py:65:90 ]
	s_sub_co_i32 s29, 0, s35
	s_delay_alu instid0(TRANS32_DEP_1) | instskip(SKIP_2) | instid1(SALU_CYCLE_2)
	v_readfirstlane_b32 s0, v0
	s_mul_f32 s0, s0, 0x4f7ffffe
	s_wait_alu depctr_sa_sdst(0)
	s_cvt_u32_f32 s0, s0
	s_wait_alu depctr_sa_sdst(0)
	s_delay_alu instid0(SALU_CYCLE_2)
	s_mul_i32 s1, s1, s0
	s_wait_alu depctr_sa_sdst(0)
	s_mul_hi_u32 s1, s0, s1
	s_wait_alu depctr_sa_sdst(0)
	s_add_co_i32 s24, s0, s1
	s_branch .LBB0_486
.Ltmp90:
.LBB0_485:                              ;   in Loop: Header=BB0_486 Depth=1
	.loc	1 0 44 is_stmt 0                ; persistent_matmul.py:0:44
	s_wait_alu depctr_sa_sdst(0)
	s_or_b32 exec_lo, exec_lo, s0
	.loc	1 43 59 is_stmt 1               ; persistent_matmul.py:43:59
	s_addk_co_i32 s26, 0x130
	s_wait_alu depctr_sa_sdst(0)
	s_cmp_ge_i32 s26, s49
	s_cbranch_scc1 .LBB0_614
.LBB0_486:                              ; %.lr.ph9
                                        ; =>This Inner Loop Header: Depth=1
.Ltmp91:
	.loc	1 10 26                         ; persistent_matmul.py:10:26 @[ persistent_matmul.py:65:90 ]
	s_abs_i32 s16, s26
	s_wait_alu depctr_sa_sdst(0)
	s_mul_u64 s[0:1], s[16:17], s[24:25]
	s_ashr_i32 s0, s26, 31
	s_wait_alu depctr_sa_sdst(0)
	s_mul_i32 s2, s1, s27
	s_xor_b32 s3, s0, s28
	s_wait_alu depctr_sa_sdst(0)
	s_sub_co_i32 s2, s16, s2
	s_add_co_i32 s4, s1, 1
	s_wait_alu depctr_sa_sdst(0)
	s_sub_co_i32 s5, s2, s27
	s_cmp_ge_u32 s2, s27
	s_cselect_b32 s1, s4, s1
	s_wait_alu depctr_sa_sdst(0)
	s_cselect_b32 s2, s5, s2
	s_add_co_i32 s4, s1, 1
	s_wait_alu depctr_sa_sdst(0)
	s_cmp_ge_u32 s2, s27
	s_cselect_b32 s1, s4, s1
	s_wait_alu depctr_sa_sdst(0)
	s_xor_b32 s1, s1, s3
	s_wait_alu depctr_sa_sdst(0)
	s_sub_co_i32 s1, s1, s3
	.loc	1 11 29                         ; persistent_matmul.py:11:29 @[ persistent_matmul.py:65:90 ]
	s_wait_alu depctr_sa_sdst(0)
	s_lshl_b32 s2, s1, 3
	.loc	1 14 44                         ; persistent_matmul.py:14:44 @[ persistent_matmul.py:65:90 ]
	s_mul_i32 s8, s29, s1
	.loc	1 12 35                         ; persistent_matmul.py:12:35 @[ persistent_matmul.py:65:90 ]
	s_wait_alu depctr_sa_sdst(0)
	s_sub_co_i32 s3, s33, s2
	.loc	1 14 23                         ; persistent_matmul.py:14:23 @[ persistent_matmul.py:65:90 ]
	s_mul_i32 s1, s1, s35
	.loc	1 12 48                         ; persistent_matmul.py:12:48 @[ persistent_matmul.py:65:90 ]
	s_wait_alu depctr_sa_sdst(0)
	s_min_i32 s3, s3, 8
	.loc	1 13 37                         ; persistent_matmul.py:13:37 @[ persistent_matmul.py:65:90 ]
	s_wait_alu depctr_sa_sdst(0)
	s_abs_i32 s4, s3
	s_ashr_i32 s3, s3, 31
	s_wait_alu depctr_sa_sdst(0)
	s_cvt_f32_u32 s5, s4
	s_sub_co_i32 s6, 0, s4
	s_wait_alu depctr_sa_sdst(0)
	s_delay_alu instid0(SALU_CYCLE_1) | instskip(NEXT) | instid1(TRANS32_DEP_1)
	v_rcp_iflag_f32_e32 v0, s5
	v_readfirstlane_b32 s5, v0
	s_mul_f32 s5, s5, 0x4f7ffffe
	s_wait_alu depctr_sa_sdst(0)
	s_delay_alu instid0(SALU_CYCLE_2) | instskip(SKIP_1) | instid1(SALU_CYCLE_2)
	s_cvt_u32_f32 s5, s5
	s_wait_alu depctr_sa_sdst(0)
	s_mul_i32 s6, s6, s5
	s_wait_alu depctr_sa_sdst(0)
	s_mul_hi_u32 s6, s5, s6
	s_wait_alu depctr_sa_sdst(0)
	s_add_co_i32 s5, s5, s6
	s_wait_alu depctr_sa_sdst(0)
	s_mul_hi_u32 s6, s16, s5
	s_wait_alu depctr_sa_sdst(0)
	s_mul_i32 s6, s6, s4
	s_wait_alu depctr_sa_sdst(0)
	s_sub_co_i32 s6, s16, s6
	s_wait_alu depctr_sa_sdst(0)
	s_sub_co_i32 s7, s6, s4
	s_cmp_ge_u32 s6, s4
	s_wait_alu depctr_sa_sdst(0)
	s_cselect_b32 s6, s7, s6
	s_wait_alu depctr_sa_sdst(0)
	s_sub_co_i32 s7, s6, s4
	s_cmp_ge_u32 s6, s4
	s_wait_alu depctr_sa_sdst(0)
	s_cselect_b32 s6, s7, s6
	.loc	1 14 44                         ; persistent_matmul.py:14:44 @[ persistent_matmul.py:65:90 ]
	s_add_co_i32 s7, s26, s8
	.loc	1 13 37                         ; persistent_matmul.py:13:37 @[ persistent_matmul.py:65:90 ]
	s_wait_alu depctr_sa_sdst(0)
	s_xor_b32 s6, s6, s0
	.loc	1 14 44                         ; persistent_matmul.py:14:44 @[ persistent_matmul.py:65:90 ]
	s_ashr_i32 s7, s7, 31
	.loc	1 13 37                         ; persistent_matmul.py:13:37 @[ persistent_matmul.py:65:90 ]
	s_wait_alu depctr_sa_sdst(0)
	s_sub_co_i32 s0, s6, s0
	.loc	1 14 44                         ; persistent_matmul.py:14:44 @[ persistent_matmul.py:65:90 ]
	s_sub_co_i32 s1, s7, s1
	.loc	1 13 27                         ; persistent_matmul.py:13:27 @[ persistent_matmul.py:65:90 ]
	s_wait_alu depctr_sa_sdst(0)
	s_add_co_i32 s2, s2, s0
	.loc	1 14 44                         ; persistent_matmul.py:14:44 @[ persistent_matmul.py:65:90 ]
	s_add_co_i32 s1, s26, s1
	s_xor_b32 s3, s7, s3
	s_wait_alu depctr_sa_sdst(0)
	s_xor_b32 s1, s1, s7
	s_wait_alu depctr_sa_sdst(0)
	s_mul_hi_u32 s5, s1, s5
	s_wait_alu depctr_sa_sdst(0)
	s_mul_i32 s6, s5, s4
	s_wait_alu depctr_sa_sdst(0)
	s_sub_co_i32 s0, s1, s6
	s_add_co_i32 s1, s5, 1
	s_wait_alu depctr_sa_sdst(0)
	s_sub_co_i32 s6, s0, s4
	s_cmp_ge_u32 s0, s4
	s_cselect_b32 s1, s1, s5
	s_wait_alu depctr_sa_sdst(0)
	s_cselect_b32 s0, s6, s0
	s_add_co_i32 s5, s1, 1
	s_wait_alu depctr_sa_sdst(0)
	s_cmp_ge_u32 s0, s4
	s_cselect_b32 s0, s5, s1
.Ltmp92:
	.loc	1 66 26                         ; persistent_matmul.py:66:26
	s_lshl_b32 s30, s2, 7
.Ltmp93:
	.loc	1 14 44                         ; persistent_matmul.py:14:44 @[ persistent_matmul.py:65:90 ]
	s_wait_alu depctr_sa_sdst(0)
	s_xor_b32 s0, s0, s3
.Ltmp94:
	.loc	1 66 41                         ; persistent_matmul.py:66:41
	v_or_b32_e32 v3, s30, v129
.Ltmp95:
	.loc	1 14 44                         ; persistent_matmul.py:14:44 @[ persistent_matmul.py:65:90 ]
	s_wait_alu depctr_sa_sdst(0)
	s_sub_co_i32 s0, s0, s3
.Ltmp96:
	.loc	1 67 26                         ; persistent_matmul.py:67:26
	s_wait_alu depctr_sa_sdst(0)
	s_lshl_b32 s16, s0, 7
	.loc	1 68 37                         ; persistent_matmul.py:68:37
	v_mul_lo_u32 v0, v3, s18
	.loc	1 67 41                         ; persistent_matmul.py:67:41
	s_wait_alu depctr_sa_sdst(0)
	v_or_b32_e32 v4, s16, v130
	.loc	1 69 37                         ; persistent_matmul.py:69:37
	v_cmp_gt_i32_e64 s15, s22, v3
	s_delay_alu instid0(VALU_DEP_2) | instskip(NEXT) | instid1(VALU_DEP_4)
	.loc	1 69 62 is_stmt 0               ; persistent_matmul.py:69:62
	v_cmp_gt_i32_e32 vcc_lo, s23, v4
	.loc	1 68 25 is_stmt 1               ; persistent_matmul.py:68:25
	v_ashrrev_i32_e32 v1, 31, v0
	s_delay_alu instid0(VALU_DEP_1) | instskip(SKIP_1) | instid1(VALU_DEP_2)
	v_lshlrev_b64_e32 v[1:2], 1, v[0:1]
	.loc	1 68 68 is_stmt 0               ; persistent_matmul.py:68:68
	v_mul_lo_u32 v0, v4, s19
	.loc	1 68 25                         ; persistent_matmul.py:68:25
	v_add_co_u32 v33, s0, s20, v1
	s_wait_alu depctr_va_sdst(0)
	s_delay_alu instid0(VALU_DEP_3) | instskip(NEXT) | instid1(VALU_DEP_3)
	v_add_co_ci_u32_e64 v34, null, s21, v2, s0
	.loc	1 68 56                         ; persistent_matmul.py:68:56
	v_ashrrev_i32_e32 v1, 31, v0
	.loc	1 69 43 is_stmt 1               ; persistent_matmul.py:69:43
	s_and_b32 s0, s15, vcc_lo
	.loc	1 74 25                         ; persistent_matmul.py:74:25
	s_wait_alu depctr_sa_sdst(0)
	s_and_saveexec_b32 s1, s0
	s_cbranch_execz .LBB0_488
; %bb.487:                              ;   in Loop: Header=BB0_486 Depth=1
	.loc	1 0 25 is_stmt 0                ; persistent_matmul.py:0:25
	v_lshlrev_b64_e32 v[2:3], 1, v[0:1]
	s_delay_alu instid0(VALU_DEP_1) | instskip(SKIP_1) | instid1(VALU_DEP_2)
	v_add_co_u32 v2, s0, v33, v2
	s_wait_alu depctr_va_sdst(0)
	v_add_co_ci_u32_e64 v3, null, v34, v3, s0
	.loc	1 74 25                         ; persistent_matmul.py:74:25
	global_store_b16 v[2:3], v32, off
.LBB0_488:                              ;   in Loop: Header=BB0_486 Depth=1
	.loc	1 0 25                          ; persistent_matmul.py:0:25
	s_wait_alu depctr_sa_sdst(0)
	s_or_b32 exec_lo, exec_lo, s1
	.loc	1 67 41 is_stmt 1               ; persistent_matmul.py:67:41
	v_or_b32_e32 v3, s16, v134
	s_delay_alu instid0(VALU_DEP_1)
	.loc	1 68 68                         ; persistent_matmul.py:68:68
	v_mul_lo_u32 v2, v3, s19
	.loc	1 69 62                         ; persistent_matmul.py:69:62
	v_cmp_gt_i32_e64 s0, s23, v3
	.loc	1 69 43 is_stmt 0               ; persistent_matmul.py:69:43
	s_and_b32 s1, s15, s0
	.loc	1 68 56 is_stmt 1               ; persistent_matmul.py:68:56
	v_ashrrev_i32_e32 v3, 31, v2
	.loc	1 74 25                         ; persistent_matmul.py:74:25
	s_wait_alu depctr_sa_sdst(0)
	s_and_saveexec_b32 s2, s1
	s_cbranch_execz .LBB0_490
; %bb.489:                              ;   in Loop: Header=BB0_486 Depth=1
	.loc	1 0 25 is_stmt 0                ; persistent_matmul.py:0:25
	s_delay_alu instid0(VALU_DEP_1) | instskip(NEXT) | instid1(VALU_DEP_1)
	.loc	1 68 56 is_stmt 1               ; persistent_matmul.py:68:56
	v_lshlrev_b64_e32 v[4:5], 1, v[2:3]
	v_add_co_u32 v4, s1, v33, v4
	s_wait_alu depctr_va_sdst(0)
	s_delay_alu instid0(VALU_DEP_2)
	v_add_co_ci_u32_e64 v5, null, v34, v5, s1
	.loc	1 74 25                         ; persistent_matmul.py:74:25
	global_store_b16 v[4:5], v32, off
.LBB0_490:                              ;   in Loop: Header=BB0_486 Depth=1
	.loc	1 0 25 is_stmt 0                ; persistent_matmul.py:0:25
	s_wait_alu depctr_sa_sdst(0)
	s_or_b32 exec_lo, exec_lo, s2
	.loc	1 67 41 is_stmt 1               ; persistent_matmul.py:67:41
	v_or_b32_e32 v5, s16, v135
	s_delay_alu instid0(VALU_DEP_1)
	.loc	1 68 68                         ; persistent_matmul.py:68:68
	v_mul_lo_u32 v4, v5, s19
	.loc	1 69 62                         ; persistent_matmul.py:69:62
	v_cmp_gt_i32_e64 s1, s23, v5
	.loc	1 69 43 is_stmt 0               ; persistent_matmul.py:69:43
	s_and_b32 s2, s15, s1
	.loc	1 68 56 is_stmt 1               ; persistent_matmul.py:68:56
	v_ashrrev_i32_e32 v5, 31, v4
	.loc	1 74 25                         ; persistent_matmul.py:74:25
	s_wait_alu depctr_sa_sdst(0)
	s_and_saveexec_b32 s3, s2
	s_cbranch_execz .LBB0_492
; %bb.491:                              ;   in Loop: Header=BB0_486 Depth=1
	.loc	1 0 25 is_stmt 0                ; persistent_matmul.py:0:25
	s_delay_alu instid0(VALU_DEP_1) | instskip(NEXT) | instid1(VALU_DEP_1)
	.loc	1 68 56 is_stmt 1               ; persistent_matmul.py:68:56
	v_lshlrev_b64_e32 v[6:7], 1, v[4:5]
	v_add_co_u32 v6, s2, v33, v6
	s_wait_alu depctr_va_sdst(0)
	s_delay_alu instid0(VALU_DEP_2)
	v_add_co_ci_u32_e64 v7, null, v34, v7, s2
	.loc	1 74 25                         ; persistent_matmul.py:74:25
	global_store_b16 v[6:7], v32, off
.LBB0_492:                              ;   in Loop: Header=BB0_486 Depth=1
	.loc	1 0 25 is_stmt 0                ; persistent_matmul.py:0:25
	;; [unrolled: 30-line block ×15, first 2 shown]
	s_wait_alu depctr_sa_sdst(0)
	s_or_b32 exec_lo, exec_lo, s16
	.loc	1 66 41 is_stmt 1               ; persistent_matmul.py:66:41
	v_or_b32_e32 v35, s30, v131
	s_delay_alu instid0(VALU_DEP_1) | instskip(SKIP_1) | instid1(VALU_DEP_2)
	.loc	1 68 37                         ; persistent_matmul.py:68:37
	v_mul_lo_u32 v33, v35, s18
	.loc	1 69 37                         ; persistent_matmul.py:69:37
	v_cmp_gt_i32_e64 s15, s22, v35
	.loc	1 68 25                         ; persistent_matmul.py:68:25
	v_ashrrev_i32_e32 v34, 31, v33
	s_delay_alu instid0(VALU_DEP_1) | instskip(NEXT) | instid1(VALU_DEP_1)
	v_lshlrev_b64_e32 v[33:34], 1, v[33:34]
	v_add_co_u32 v33, s16, s20, v33
	s_wait_alu depctr_va_sdst(0)
	s_delay_alu instid0(VALU_DEP_2)
	v_add_co_ci_u32_e64 v34, null, s21, v34, s16
	.loc	1 69 43                         ; persistent_matmul.py:69:43
	s_and_b32 s16, s15, vcc_lo
	.loc	1 74 25                         ; persistent_matmul.py:74:25
	s_wait_alu depctr_sa_sdst(0)
	s_and_saveexec_b32 s31, s16
	s_cbranch_execnz .LBB0_568
; %bb.519:                              ;   in Loop: Header=BB0_486 Depth=1
	.loc	1 0 25 is_stmt 0                ; persistent_matmul.py:0:25
	s_wait_alu depctr_sa_sdst(0)
	s_or_b32 exec_lo, exec_lo, s31
	.loc	1 69 43 is_stmt 1               ; persistent_matmul.py:69:43
	s_and_b32 s16, s15, s0
	.loc	1 74 25                         ; persistent_matmul.py:74:25
	s_wait_alu depctr_sa_sdst(0)
	s_and_saveexec_b32 s31, s16
	s_cbranch_execnz .LBB0_569
.LBB0_520:                              ;   in Loop: Header=BB0_486 Depth=1
	.loc	1 0 25 is_stmt 0                ; persistent_matmul.py:0:25
	s_wait_alu depctr_sa_sdst(0)
	s_or_b32 exec_lo, exec_lo, s31
	.loc	1 69 43 is_stmt 1               ; persistent_matmul.py:69:43
	s_and_b32 s16, s15, s1
	.loc	1 74 25                         ; persistent_matmul.py:74:25
	s_wait_alu depctr_sa_sdst(0)
	s_and_saveexec_b32 s31, s16
	s_cbranch_execnz .LBB0_570
.LBB0_521:                              ;   in Loop: Header=BB0_486 Depth=1
	.loc	1 0 25 is_stmt 0                ; persistent_matmul.py:0:25
	s_wait_alu depctr_sa_sdst(0)
	s_or_b32 exec_lo, exec_lo, s31
	.loc	1 69 43 is_stmt 1               ; persistent_matmul.py:69:43
	s_and_b32 s16, s15, s2
	.loc	1 74 25                         ; persistent_matmul.py:74:25
	s_wait_alu depctr_sa_sdst(0)
	s_and_saveexec_b32 s31, s16
	s_cbranch_execnz .LBB0_571
.LBB0_522:                              ;   in Loop: Header=BB0_486 Depth=1
	.loc	1 0 25 is_stmt 0                ; persistent_matmul.py:0:25
	s_wait_alu depctr_sa_sdst(0)
	s_or_b32 exec_lo, exec_lo, s31
	.loc	1 69 43 is_stmt 1               ; persistent_matmul.py:69:43
	s_and_b32 s16, s15, s3
	.loc	1 74 25                         ; persistent_matmul.py:74:25
	s_wait_alu depctr_sa_sdst(0)
	s_and_saveexec_b32 s31, s16
	s_cbranch_execnz .LBB0_572
.LBB0_523:                              ;   in Loop: Header=BB0_486 Depth=1
	.loc	1 0 25 is_stmt 0                ; persistent_matmul.py:0:25
	s_wait_alu depctr_sa_sdst(0)
	s_or_b32 exec_lo, exec_lo, s31
	.loc	1 69 43 is_stmt 1               ; persistent_matmul.py:69:43
	s_and_b32 s16, s15, s4
	.loc	1 74 25                         ; persistent_matmul.py:74:25
	s_wait_alu depctr_sa_sdst(0)
	s_and_saveexec_b32 s31, s16
	s_cbranch_execnz .LBB0_573
.LBB0_524:                              ;   in Loop: Header=BB0_486 Depth=1
	.loc	1 0 25 is_stmt 0                ; persistent_matmul.py:0:25
	s_wait_alu depctr_sa_sdst(0)
	s_or_b32 exec_lo, exec_lo, s31
	.loc	1 69 43 is_stmt 1               ; persistent_matmul.py:69:43
	s_and_b32 s16, s15, s5
	.loc	1 74 25                         ; persistent_matmul.py:74:25
	s_wait_alu depctr_sa_sdst(0)
	s_and_saveexec_b32 s31, s16
	s_cbranch_execnz .LBB0_574
.LBB0_525:                              ;   in Loop: Header=BB0_486 Depth=1
	.loc	1 0 25 is_stmt 0                ; persistent_matmul.py:0:25
	s_wait_alu depctr_sa_sdst(0)
	s_or_b32 exec_lo, exec_lo, s31
	.loc	1 69 43 is_stmt 1               ; persistent_matmul.py:69:43
	s_and_b32 s16, s15, s6
	.loc	1 74 25                         ; persistent_matmul.py:74:25
	s_wait_alu depctr_sa_sdst(0)
	s_and_saveexec_b32 s31, s16
	s_cbranch_execnz .LBB0_575
.LBB0_526:                              ;   in Loop: Header=BB0_486 Depth=1
	.loc	1 0 25 is_stmt 0                ; persistent_matmul.py:0:25
	s_wait_alu depctr_sa_sdst(0)
	s_or_b32 exec_lo, exec_lo, s31
	.loc	1 69 43 is_stmt 1               ; persistent_matmul.py:69:43
	s_and_b32 s16, s15, s7
	.loc	1 74 25                         ; persistent_matmul.py:74:25
	s_wait_alu depctr_sa_sdst(0)
	s_and_saveexec_b32 s31, s16
	s_cbranch_execnz .LBB0_576
.LBB0_527:                              ;   in Loop: Header=BB0_486 Depth=1
	.loc	1 0 25 is_stmt 0                ; persistent_matmul.py:0:25
	s_wait_alu depctr_sa_sdst(0)
	s_or_b32 exec_lo, exec_lo, s31
	.loc	1 69 43 is_stmt 1               ; persistent_matmul.py:69:43
	s_and_b32 s16, s15, s8
	.loc	1 74 25                         ; persistent_matmul.py:74:25
	s_wait_alu depctr_sa_sdst(0)
	s_and_saveexec_b32 s31, s16
	s_cbranch_execnz .LBB0_577
.LBB0_528:                              ;   in Loop: Header=BB0_486 Depth=1
	.loc	1 0 25 is_stmt 0                ; persistent_matmul.py:0:25
	s_wait_alu depctr_sa_sdst(0)
	s_or_b32 exec_lo, exec_lo, s31
	.loc	1 69 43 is_stmt 1               ; persistent_matmul.py:69:43
	s_and_b32 s16, s15, s9
	.loc	1 74 25                         ; persistent_matmul.py:74:25
	s_wait_alu depctr_sa_sdst(0)
	s_and_saveexec_b32 s31, s16
	s_cbranch_execnz .LBB0_578
.LBB0_529:                              ;   in Loop: Header=BB0_486 Depth=1
	.loc	1 0 25 is_stmt 0                ; persistent_matmul.py:0:25
	s_wait_alu depctr_sa_sdst(0)
	s_or_b32 exec_lo, exec_lo, s31
	.loc	1 69 43 is_stmt 1               ; persistent_matmul.py:69:43
	s_and_b32 s16, s15, s10
	.loc	1 74 25                         ; persistent_matmul.py:74:25
	s_wait_alu depctr_sa_sdst(0)
	s_and_saveexec_b32 s31, s16
	s_cbranch_execnz .LBB0_579
.LBB0_530:                              ;   in Loop: Header=BB0_486 Depth=1
	.loc	1 0 25 is_stmt 0                ; persistent_matmul.py:0:25
	s_wait_alu depctr_sa_sdst(0)
	s_or_b32 exec_lo, exec_lo, s31
	.loc	1 69 43 is_stmt 1               ; persistent_matmul.py:69:43
	s_and_b32 s16, s15, s11
	.loc	1 74 25                         ; persistent_matmul.py:74:25
	s_wait_alu depctr_sa_sdst(0)
	s_and_saveexec_b32 s31, s16
	s_cbranch_execnz .LBB0_580
.LBB0_531:                              ;   in Loop: Header=BB0_486 Depth=1
	.loc	1 0 25 is_stmt 0                ; persistent_matmul.py:0:25
	s_wait_alu depctr_sa_sdst(0)
	s_or_b32 exec_lo, exec_lo, s31
	.loc	1 69 43 is_stmt 1               ; persistent_matmul.py:69:43
	s_and_b32 s16, s15, s12
	.loc	1 74 25                         ; persistent_matmul.py:74:25
	s_wait_alu depctr_sa_sdst(0)
	s_and_saveexec_b32 s31, s16
	s_cbranch_execnz .LBB0_581
.LBB0_532:                              ;   in Loop: Header=BB0_486 Depth=1
	.loc	1 0 25 is_stmt 0                ; persistent_matmul.py:0:25
	s_wait_alu depctr_sa_sdst(0)
	s_or_b32 exec_lo, exec_lo, s31
	.loc	1 69 43 is_stmt 1               ; persistent_matmul.py:69:43
	s_and_b32 s16, s15, s13
	.loc	1 74 25                         ; persistent_matmul.py:74:25
	s_wait_alu depctr_sa_sdst(0)
	s_and_saveexec_b32 s31, s16
	s_cbranch_execnz .LBB0_582
.LBB0_533:                              ;   in Loop: Header=BB0_486 Depth=1
	.loc	1 0 25 is_stmt 0                ; persistent_matmul.py:0:25
	s_wait_alu depctr_sa_sdst(0)
	s_or_b32 exec_lo, exec_lo, s31
	.loc	1 69 43 is_stmt 1               ; persistent_matmul.py:69:43
	s_and_b32 s15, s15, s14
	.loc	1 74 25                         ; persistent_matmul.py:74:25
	s_wait_alu depctr_sa_sdst(0)
	s_and_saveexec_b32 s16, s15
	s_cbranch_execz .LBB0_535
.LBB0_534:                              ;   in Loop: Header=BB0_486 Depth=1
	.loc	1 68 56                         ; persistent_matmul.py:68:56
	v_lshlrev_b64_e32 v[35:36], 1, v[30:31]
	s_delay_alu instid0(VALU_DEP_1) | instskip(SKIP_1) | instid1(VALU_DEP_2)
	v_add_co_u32 v33, s15, v33, v35
	s_wait_alu depctr_va_sdst(0)
	v_add_co_ci_u32_e64 v34, null, v34, v36, s15
	.loc	1 74 25                         ; persistent_matmul.py:74:25
	global_store_b16 v[33:34], v32, off
.LBB0_535:                              ;   in Loop: Header=BB0_486 Depth=1
	.loc	1 0 25 is_stmt 0                ; persistent_matmul.py:0:25
	s_wait_alu depctr_sa_sdst(0)
	s_or_b32 exec_lo, exec_lo, s16
	.loc	1 66 41 is_stmt 1               ; persistent_matmul.py:66:41
	v_or_b32_e32 v35, s30, v132
	s_delay_alu instid0(VALU_DEP_1) | instskip(SKIP_1) | instid1(VALU_DEP_2)
	.loc	1 68 37                         ; persistent_matmul.py:68:37
	v_mul_lo_u32 v33, v35, s18
	.loc	1 69 37                         ; persistent_matmul.py:69:37
	v_cmp_gt_i32_e64 s15, s22, v35
	.loc	1 68 25                         ; persistent_matmul.py:68:25
	v_ashrrev_i32_e32 v34, 31, v33
	s_delay_alu instid0(VALU_DEP_1) | instskip(NEXT) | instid1(VALU_DEP_1)
	v_lshlrev_b64_e32 v[33:34], 1, v[33:34]
	v_add_co_u32 v33, s16, s20, v33
	s_wait_alu depctr_va_sdst(0)
	s_delay_alu instid0(VALU_DEP_2)
	v_add_co_ci_u32_e64 v34, null, s21, v34, s16
	.loc	1 69 43                         ; persistent_matmul.py:69:43
	s_and_b32 s16, s15, vcc_lo
	.loc	1 74 25                         ; persistent_matmul.py:74:25
	s_wait_alu depctr_sa_sdst(0)
	s_and_saveexec_b32 s31, s16
	s_cbranch_execnz .LBB0_583
; %bb.536:                              ;   in Loop: Header=BB0_486 Depth=1
	.loc	1 0 25 is_stmt 0                ; persistent_matmul.py:0:25
	s_wait_alu depctr_sa_sdst(0)
	s_or_b32 exec_lo, exec_lo, s31
	.loc	1 69 43 is_stmt 1               ; persistent_matmul.py:69:43
	s_and_b32 s16, s15, s0
	.loc	1 74 25                         ; persistent_matmul.py:74:25
	s_wait_alu depctr_sa_sdst(0)
	s_and_saveexec_b32 s31, s16
	s_cbranch_execnz .LBB0_584
.LBB0_537:                              ;   in Loop: Header=BB0_486 Depth=1
	.loc	1 0 25 is_stmt 0                ; persistent_matmul.py:0:25
	s_wait_alu depctr_sa_sdst(0)
	s_or_b32 exec_lo, exec_lo, s31
	.loc	1 69 43 is_stmt 1               ; persistent_matmul.py:69:43
	s_and_b32 s16, s15, s1
	.loc	1 74 25                         ; persistent_matmul.py:74:25
	s_wait_alu depctr_sa_sdst(0)
	s_and_saveexec_b32 s31, s16
	s_cbranch_execnz .LBB0_585
.LBB0_538:                              ;   in Loop: Header=BB0_486 Depth=1
	.loc	1 0 25 is_stmt 0                ; persistent_matmul.py:0:25
	s_wait_alu depctr_sa_sdst(0)
	s_or_b32 exec_lo, exec_lo, s31
	.loc	1 69 43 is_stmt 1               ; persistent_matmul.py:69:43
	s_and_b32 s16, s15, s2
	.loc	1 74 25                         ; persistent_matmul.py:74:25
	s_wait_alu depctr_sa_sdst(0)
	s_and_saveexec_b32 s31, s16
	s_cbranch_execnz .LBB0_586
.LBB0_539:                              ;   in Loop: Header=BB0_486 Depth=1
	.loc	1 0 25 is_stmt 0                ; persistent_matmul.py:0:25
	s_wait_alu depctr_sa_sdst(0)
	s_or_b32 exec_lo, exec_lo, s31
	.loc	1 69 43 is_stmt 1               ; persistent_matmul.py:69:43
	s_and_b32 s16, s15, s3
	.loc	1 74 25                         ; persistent_matmul.py:74:25
	s_wait_alu depctr_sa_sdst(0)
	s_and_saveexec_b32 s31, s16
	s_cbranch_execnz .LBB0_587
.LBB0_540:                              ;   in Loop: Header=BB0_486 Depth=1
	.loc	1 0 25 is_stmt 0                ; persistent_matmul.py:0:25
	s_wait_alu depctr_sa_sdst(0)
	s_or_b32 exec_lo, exec_lo, s31
	.loc	1 69 43 is_stmt 1               ; persistent_matmul.py:69:43
	s_and_b32 s16, s15, s4
	.loc	1 74 25                         ; persistent_matmul.py:74:25
	s_wait_alu depctr_sa_sdst(0)
	s_and_saveexec_b32 s31, s16
	s_cbranch_execnz .LBB0_588
.LBB0_541:                              ;   in Loop: Header=BB0_486 Depth=1
	.loc	1 0 25 is_stmt 0                ; persistent_matmul.py:0:25
	s_wait_alu depctr_sa_sdst(0)
	s_or_b32 exec_lo, exec_lo, s31
	.loc	1 69 43 is_stmt 1               ; persistent_matmul.py:69:43
	s_and_b32 s16, s15, s5
	.loc	1 74 25                         ; persistent_matmul.py:74:25
	s_wait_alu depctr_sa_sdst(0)
	s_and_saveexec_b32 s31, s16
	s_cbranch_execnz .LBB0_589
.LBB0_542:                              ;   in Loop: Header=BB0_486 Depth=1
	.loc	1 0 25 is_stmt 0                ; persistent_matmul.py:0:25
	s_wait_alu depctr_sa_sdst(0)
	s_or_b32 exec_lo, exec_lo, s31
	.loc	1 69 43 is_stmt 1               ; persistent_matmul.py:69:43
	s_and_b32 s16, s15, s6
	.loc	1 74 25                         ; persistent_matmul.py:74:25
	s_wait_alu depctr_sa_sdst(0)
	s_and_saveexec_b32 s31, s16
	s_cbranch_execnz .LBB0_590
.LBB0_543:                              ;   in Loop: Header=BB0_486 Depth=1
	.loc	1 0 25 is_stmt 0                ; persistent_matmul.py:0:25
	s_wait_alu depctr_sa_sdst(0)
	s_or_b32 exec_lo, exec_lo, s31
	.loc	1 69 43 is_stmt 1               ; persistent_matmul.py:69:43
	s_and_b32 s16, s15, s7
	.loc	1 74 25                         ; persistent_matmul.py:74:25
	s_wait_alu depctr_sa_sdst(0)
	s_and_saveexec_b32 s31, s16
	s_cbranch_execnz .LBB0_591
.LBB0_544:                              ;   in Loop: Header=BB0_486 Depth=1
	.loc	1 0 25 is_stmt 0                ; persistent_matmul.py:0:25
	s_wait_alu depctr_sa_sdst(0)
	s_or_b32 exec_lo, exec_lo, s31
	.loc	1 69 43 is_stmt 1               ; persistent_matmul.py:69:43
	s_and_b32 s16, s15, s8
	.loc	1 74 25                         ; persistent_matmul.py:74:25
	s_wait_alu depctr_sa_sdst(0)
	s_and_saveexec_b32 s31, s16
	s_cbranch_execnz .LBB0_592
.LBB0_545:                              ;   in Loop: Header=BB0_486 Depth=1
	.loc	1 0 25 is_stmt 0                ; persistent_matmul.py:0:25
	s_wait_alu depctr_sa_sdst(0)
	s_or_b32 exec_lo, exec_lo, s31
	.loc	1 69 43 is_stmt 1               ; persistent_matmul.py:69:43
	s_and_b32 s16, s15, s9
	.loc	1 74 25                         ; persistent_matmul.py:74:25
	s_wait_alu depctr_sa_sdst(0)
	s_and_saveexec_b32 s31, s16
	s_cbranch_execnz .LBB0_593
.LBB0_546:                              ;   in Loop: Header=BB0_486 Depth=1
	.loc	1 0 25 is_stmt 0                ; persistent_matmul.py:0:25
	s_wait_alu depctr_sa_sdst(0)
	s_or_b32 exec_lo, exec_lo, s31
	.loc	1 69 43 is_stmt 1               ; persistent_matmul.py:69:43
	s_and_b32 s16, s15, s10
	.loc	1 74 25                         ; persistent_matmul.py:74:25
	s_wait_alu depctr_sa_sdst(0)
	s_and_saveexec_b32 s31, s16
	s_cbranch_execnz .LBB0_594
.LBB0_547:                              ;   in Loop: Header=BB0_486 Depth=1
	.loc	1 0 25 is_stmt 0                ; persistent_matmul.py:0:25
	s_wait_alu depctr_sa_sdst(0)
	s_or_b32 exec_lo, exec_lo, s31
	.loc	1 69 43 is_stmt 1               ; persistent_matmul.py:69:43
	s_and_b32 s16, s15, s11
	.loc	1 74 25                         ; persistent_matmul.py:74:25
	s_wait_alu depctr_sa_sdst(0)
	s_and_saveexec_b32 s31, s16
	s_cbranch_execnz .LBB0_595
.LBB0_548:                              ;   in Loop: Header=BB0_486 Depth=1
	.loc	1 0 25 is_stmt 0                ; persistent_matmul.py:0:25
	s_wait_alu depctr_sa_sdst(0)
	s_or_b32 exec_lo, exec_lo, s31
	.loc	1 69 43 is_stmt 1               ; persistent_matmul.py:69:43
	s_and_b32 s16, s15, s12
	.loc	1 74 25                         ; persistent_matmul.py:74:25
	s_wait_alu depctr_sa_sdst(0)
	s_and_saveexec_b32 s31, s16
	s_cbranch_execnz .LBB0_596
.LBB0_549:                              ;   in Loop: Header=BB0_486 Depth=1
	.loc	1 0 25 is_stmt 0                ; persistent_matmul.py:0:25
	s_wait_alu depctr_sa_sdst(0)
	s_or_b32 exec_lo, exec_lo, s31
	.loc	1 69 43 is_stmt 1               ; persistent_matmul.py:69:43
	s_and_b32 s16, s15, s13
	.loc	1 74 25                         ; persistent_matmul.py:74:25
	s_wait_alu depctr_sa_sdst(0)
	s_and_saveexec_b32 s31, s16
	s_cbranch_execnz .LBB0_597
.LBB0_550:                              ;   in Loop: Header=BB0_486 Depth=1
	.loc	1 0 25 is_stmt 0                ; persistent_matmul.py:0:25
	s_wait_alu depctr_sa_sdst(0)
	s_or_b32 exec_lo, exec_lo, s31
	.loc	1 69 43 is_stmt 1               ; persistent_matmul.py:69:43
	s_and_b32 s15, s15, s14
	.loc	1 74 25                         ; persistent_matmul.py:74:25
	s_wait_alu depctr_sa_sdst(0)
	s_and_saveexec_b32 s16, s15
	s_cbranch_execz .LBB0_552
.LBB0_551:                              ;   in Loop: Header=BB0_486 Depth=1
	.loc	1 68 56                         ; persistent_matmul.py:68:56
	v_lshlrev_b64_e32 v[35:36], 1, v[30:31]
	s_delay_alu instid0(VALU_DEP_1) | instskip(SKIP_1) | instid1(VALU_DEP_2)
	v_add_co_u32 v33, s15, v33, v35
	s_wait_alu depctr_va_sdst(0)
	v_add_co_ci_u32_e64 v34, null, v34, v36, s15
	.loc	1 74 25                         ; persistent_matmul.py:74:25
	global_store_b16 v[33:34], v32, off
.LBB0_552:                              ;   in Loop: Header=BB0_486 Depth=1
	.loc	1 0 25 is_stmt 0                ; persistent_matmul.py:0:25
	s_wait_alu depctr_sa_sdst(0)
	s_or_b32 exec_lo, exec_lo, s16
	.loc	1 66 41 is_stmt 1               ; persistent_matmul.py:66:41
	v_or_b32_e32 v35, s30, v133
	s_delay_alu instid0(VALU_DEP_1) | instskip(SKIP_3) | instid1(VALU_DEP_1)
	.loc	1 68 37                         ; persistent_matmul.py:68:37
	v_mul_lo_u32 v33, v35, s18
	.loc	1 69 37                         ; persistent_matmul.py:69:37
	v_cmp_gt_i32_e64 s15, s22, v35
	.loc	1 69 43 is_stmt 0               ; persistent_matmul.py:69:43
	s_and_b32 s30, s15, vcc_lo
	.loc	1 68 25 is_stmt 1               ; persistent_matmul.py:68:25
	v_ashrrev_i32_e32 v34, 31, v33
	v_lshlrev_b64_e32 v[33:34], 1, v[33:34]
	s_delay_alu instid0(VALU_DEP_1) | instskip(SKIP_1) | instid1(VALU_DEP_2)
	v_add_co_u32 v33, s16, s20, v33
	s_wait_alu depctr_va_sdst(0)
	v_add_co_ci_u32_e64 v34, null, s21, v34, s16
	.loc	1 74 25                         ; persistent_matmul.py:74:25
	s_wait_alu depctr_sa_sdst(0)
	s_and_saveexec_b32 s16, s30
	s_cbranch_execnz .LBB0_598
; %bb.553:                              ;   in Loop: Header=BB0_486 Depth=1
	.loc	1 0 25 is_stmt 0                ; persistent_matmul.py:0:25
	s_wait_alu depctr_sa_sdst(0)
	s_or_b32 exec_lo, exec_lo, s16
	.loc	1 69 43 is_stmt 1               ; persistent_matmul.py:69:43
	s_and_b32 s16, s15, s0
	.loc	1 74 25                         ; persistent_matmul.py:74:25
	s_wait_alu depctr_sa_sdst(0)
	s_and_saveexec_b32 s0, s16
	s_cbranch_execnz .LBB0_599
.LBB0_554:                              ;   in Loop: Header=BB0_486 Depth=1
	.loc	1 0 25 is_stmt 0                ; persistent_matmul.py:0:25
	s_wait_alu depctr_sa_sdst(0)
	s_or_b32 exec_lo, exec_lo, s0
	.loc	1 69 43 is_stmt 1               ; persistent_matmul.py:69:43
	s_and_b32 s1, s15, s1
	.loc	1 74 25                         ; persistent_matmul.py:74:25
	s_wait_alu depctr_sa_sdst(0)
	s_and_saveexec_b32 s0, s1
	s_cbranch_execnz .LBB0_600
.LBB0_555:                              ;   in Loop: Header=BB0_486 Depth=1
	.loc	1 0 25 is_stmt 0                ; persistent_matmul.py:0:25
	s_wait_alu depctr_sa_sdst(0)
	s_or_b32 exec_lo, exec_lo, s0
	.loc	1 69 43 is_stmt 1               ; persistent_matmul.py:69:43
	s_and_b32 s1, s15, s2
	.loc	1 74 25                         ; persistent_matmul.py:74:25
	s_wait_alu depctr_sa_sdst(0)
	s_and_saveexec_b32 s0, s1
	s_cbranch_execnz .LBB0_601
.LBB0_556:                              ;   in Loop: Header=BB0_486 Depth=1
	.loc	1 0 25 is_stmt 0                ; persistent_matmul.py:0:25
	s_wait_alu depctr_sa_sdst(0)
	s_or_b32 exec_lo, exec_lo, s0
	.loc	1 69 43 is_stmt 1               ; persistent_matmul.py:69:43
	s_and_b32 s1, s15, s3
	.loc	1 74 25                         ; persistent_matmul.py:74:25
	s_wait_alu depctr_sa_sdst(0)
	s_and_saveexec_b32 s0, s1
	s_cbranch_execnz .LBB0_602
.LBB0_557:                              ;   in Loop: Header=BB0_486 Depth=1
	.loc	1 0 25 is_stmt 0                ; persistent_matmul.py:0:25
	s_wait_alu depctr_sa_sdst(0)
	s_or_b32 exec_lo, exec_lo, s0
	.loc	1 69 43 is_stmt 1               ; persistent_matmul.py:69:43
	s_and_b32 s1, s15, s4
	.loc	1 74 25                         ; persistent_matmul.py:74:25
	s_wait_alu depctr_sa_sdst(0)
	s_and_saveexec_b32 s0, s1
	s_cbranch_execnz .LBB0_603
.LBB0_558:                              ;   in Loop: Header=BB0_486 Depth=1
	.loc	1 0 25 is_stmt 0                ; persistent_matmul.py:0:25
	s_wait_alu depctr_sa_sdst(0)
	s_or_b32 exec_lo, exec_lo, s0
	.loc	1 69 43 is_stmt 1               ; persistent_matmul.py:69:43
	s_and_b32 s1, s15, s5
	.loc	1 74 25                         ; persistent_matmul.py:74:25
	s_wait_alu depctr_sa_sdst(0)
	s_and_saveexec_b32 s0, s1
	s_cbranch_execnz .LBB0_604
.LBB0_559:                              ;   in Loop: Header=BB0_486 Depth=1
	.loc	1 0 25 is_stmt 0                ; persistent_matmul.py:0:25
	s_wait_alu depctr_sa_sdst(0)
	s_or_b32 exec_lo, exec_lo, s0
	.loc	1 69 43 is_stmt 1               ; persistent_matmul.py:69:43
	s_and_b32 s1, s15, s6
	.loc	1 74 25                         ; persistent_matmul.py:74:25
	s_wait_alu depctr_sa_sdst(0)
	s_and_saveexec_b32 s0, s1
	s_cbranch_execnz .LBB0_605
.LBB0_560:                              ;   in Loop: Header=BB0_486 Depth=1
	.loc	1 0 25 is_stmt 0                ; persistent_matmul.py:0:25
	s_wait_alu depctr_sa_sdst(0)
	s_or_b32 exec_lo, exec_lo, s0
	.loc	1 69 43 is_stmt 1               ; persistent_matmul.py:69:43
	s_and_b32 s1, s15, s7
	.loc	1 74 25                         ; persistent_matmul.py:74:25
	s_wait_alu depctr_sa_sdst(0)
	s_and_saveexec_b32 s0, s1
	s_cbranch_execnz .LBB0_606
.LBB0_561:                              ;   in Loop: Header=BB0_486 Depth=1
	.loc	1 0 25 is_stmt 0                ; persistent_matmul.py:0:25
	s_wait_alu depctr_sa_sdst(0)
	s_or_b32 exec_lo, exec_lo, s0
	.loc	1 69 43 is_stmt 1               ; persistent_matmul.py:69:43
	s_and_b32 s1, s15, s8
	.loc	1 74 25                         ; persistent_matmul.py:74:25
	s_wait_alu depctr_sa_sdst(0)
	s_and_saveexec_b32 s0, s1
	s_cbranch_execnz .LBB0_607
.LBB0_562:                              ;   in Loop: Header=BB0_486 Depth=1
	.loc	1 0 25 is_stmt 0                ; persistent_matmul.py:0:25
	s_wait_alu depctr_sa_sdst(0)
	s_or_b32 exec_lo, exec_lo, s0
	.loc	1 69 43 is_stmt 1               ; persistent_matmul.py:69:43
	s_and_b32 s1, s15, s9
	.loc	1 74 25                         ; persistent_matmul.py:74:25
	s_wait_alu depctr_sa_sdst(0)
	s_and_saveexec_b32 s0, s1
	s_cbranch_execnz .LBB0_608
.LBB0_563:                              ;   in Loop: Header=BB0_486 Depth=1
	.loc	1 0 25 is_stmt 0                ; persistent_matmul.py:0:25
	s_wait_alu depctr_sa_sdst(0)
	s_or_b32 exec_lo, exec_lo, s0
	.loc	1 69 43 is_stmt 1               ; persistent_matmul.py:69:43
	s_and_b32 s1, s15, s10
	.loc	1 74 25                         ; persistent_matmul.py:74:25
	s_wait_alu depctr_sa_sdst(0)
	s_and_saveexec_b32 s0, s1
	s_cbranch_execnz .LBB0_609
.LBB0_564:                              ;   in Loop: Header=BB0_486 Depth=1
	.loc	1 0 25 is_stmt 0                ; persistent_matmul.py:0:25
	s_wait_alu depctr_sa_sdst(0)
	s_or_b32 exec_lo, exec_lo, s0
	.loc	1 69 43 is_stmt 1               ; persistent_matmul.py:69:43
	s_and_b32 s1, s15, s11
	.loc	1 74 25                         ; persistent_matmul.py:74:25
	s_wait_alu depctr_sa_sdst(0)
	s_and_saveexec_b32 s0, s1
	s_cbranch_execnz .LBB0_610
.LBB0_565:                              ;   in Loop: Header=BB0_486 Depth=1
	.loc	1 0 25 is_stmt 0                ; persistent_matmul.py:0:25
	s_wait_alu depctr_sa_sdst(0)
	s_or_b32 exec_lo, exec_lo, s0
	.loc	1 69 43 is_stmt 1               ; persistent_matmul.py:69:43
	s_and_b32 s1, s15, s12
	.loc	1 74 25                         ; persistent_matmul.py:74:25
	s_wait_alu depctr_sa_sdst(0)
	s_and_saveexec_b32 s0, s1
	s_cbranch_execnz .LBB0_611
.LBB0_566:                              ;   in Loop: Header=BB0_486 Depth=1
	.loc	1 0 25 is_stmt 0                ; persistent_matmul.py:0:25
	s_wait_alu depctr_sa_sdst(0)
	s_or_b32 exec_lo, exec_lo, s0
	.loc	1 69 43 is_stmt 1               ; persistent_matmul.py:69:43
	s_and_b32 s1, s15, s13
	.loc	1 74 25                         ; persistent_matmul.py:74:25
	s_wait_alu depctr_sa_sdst(0)
	s_and_saveexec_b32 s0, s1
	s_cbranch_execnz .LBB0_612
.LBB0_567:                              ;   in Loop: Header=BB0_486 Depth=1
	.loc	1 0 25 is_stmt 0                ; persistent_matmul.py:0:25
	s_wait_alu depctr_sa_sdst(0)
	s_or_b32 exec_lo, exec_lo, s0
	.loc	1 69 43 is_stmt 1               ; persistent_matmul.py:69:43
	s_and_b32 s1, s15, s14
	.loc	1 74 25                         ; persistent_matmul.py:74:25
	s_wait_alu depctr_sa_sdst(0)
	s_and_saveexec_b32 s0, s1
	s_cbranch_execz .LBB0_485
	s_branch .LBB0_613
.LBB0_568:                              ;   in Loop: Header=BB0_486 Depth=1
	.loc	1 68 56                         ; persistent_matmul.py:68:56
	v_lshlrev_b64_e32 v[35:36], 1, v[0:1]
	s_delay_alu instid0(VALU_DEP_1) | instskip(SKIP_1) | instid1(VALU_DEP_2)
	v_add_co_u32 v35, s16, v33, v35
	s_wait_alu depctr_va_sdst(0)
	v_add_co_ci_u32_e64 v36, null, v34, v36, s16
	.loc	1 74 25                         ; persistent_matmul.py:74:25
	global_store_b16 v[35:36], v32, off
	s_wait_alu depctr_sa_sdst(0)
	s_or_b32 exec_lo, exec_lo, s31
	.loc	1 69 43                         ; persistent_matmul.py:69:43
	s_and_b32 s16, s15, s0
	.loc	1 74 25                         ; persistent_matmul.py:74:25
	s_wait_alu depctr_sa_sdst(0)
	s_and_saveexec_b32 s31, s16
	s_cbranch_execz .LBB0_520
.LBB0_569:                              ;   in Loop: Header=BB0_486 Depth=1
	.loc	1 68 56                         ; persistent_matmul.py:68:56
	v_lshlrev_b64_e32 v[35:36], 1, v[2:3]
	s_delay_alu instid0(VALU_DEP_1) | instskip(SKIP_1) | instid1(VALU_DEP_2)
	v_add_co_u32 v35, s16, v33, v35
	s_wait_alu depctr_va_sdst(0)
	v_add_co_ci_u32_e64 v36, null, v34, v36, s16
	.loc	1 74 25                         ; persistent_matmul.py:74:25
	global_store_b16 v[35:36], v32, off
	s_wait_alu depctr_sa_sdst(0)
	s_or_b32 exec_lo, exec_lo, s31
	.loc	1 69 43                         ; persistent_matmul.py:69:43
	s_and_b32 s16, s15, s1
	.loc	1 74 25                         ; persistent_matmul.py:74:25
	s_wait_alu depctr_sa_sdst(0)
	s_and_saveexec_b32 s31, s16
	s_cbranch_execz .LBB0_521
.LBB0_570:                              ;   in Loop: Header=BB0_486 Depth=1
	.loc	1 68 56                         ; persistent_matmul.py:68:56
	v_lshlrev_b64_e32 v[35:36], 1, v[4:5]
	s_delay_alu instid0(VALU_DEP_1) | instskip(SKIP_1) | instid1(VALU_DEP_2)
	v_add_co_u32 v35, s16, v33, v35
	s_wait_alu depctr_va_sdst(0)
	v_add_co_ci_u32_e64 v36, null, v34, v36, s16
	.loc	1 74 25                         ; persistent_matmul.py:74:25
	global_store_b16 v[35:36], v32, off
	s_wait_alu depctr_sa_sdst(0)
	s_or_b32 exec_lo, exec_lo, s31
	.loc	1 69 43                         ; persistent_matmul.py:69:43
	s_and_b32 s16, s15, s2
	.loc	1 74 25                         ; persistent_matmul.py:74:25
	s_wait_alu depctr_sa_sdst(0)
	s_and_saveexec_b32 s31, s16
	s_cbranch_execz .LBB0_522
.LBB0_571:                              ;   in Loop: Header=BB0_486 Depth=1
	.loc	1 68 56                         ; persistent_matmul.py:68:56
	v_lshlrev_b64_e32 v[35:36], 1, v[6:7]
	s_delay_alu instid0(VALU_DEP_1) | instskip(SKIP_1) | instid1(VALU_DEP_2)
	v_add_co_u32 v35, s16, v33, v35
	s_wait_alu depctr_va_sdst(0)
	v_add_co_ci_u32_e64 v36, null, v34, v36, s16
	.loc	1 74 25                         ; persistent_matmul.py:74:25
	global_store_b16 v[35:36], v32, off
	s_wait_alu depctr_sa_sdst(0)
	s_or_b32 exec_lo, exec_lo, s31
	.loc	1 69 43                         ; persistent_matmul.py:69:43
	s_and_b32 s16, s15, s3
	.loc	1 74 25                         ; persistent_matmul.py:74:25
	s_wait_alu depctr_sa_sdst(0)
	s_and_saveexec_b32 s31, s16
	s_cbranch_execz .LBB0_523
.LBB0_572:                              ;   in Loop: Header=BB0_486 Depth=1
	.loc	1 68 56                         ; persistent_matmul.py:68:56
	v_lshlrev_b64_e32 v[35:36], 1, v[8:9]
	s_delay_alu instid0(VALU_DEP_1) | instskip(SKIP_1) | instid1(VALU_DEP_2)
	v_add_co_u32 v35, s16, v33, v35
	s_wait_alu depctr_va_sdst(0)
	v_add_co_ci_u32_e64 v36, null, v34, v36, s16
	.loc	1 74 25                         ; persistent_matmul.py:74:25
	global_store_b16 v[35:36], v32, off
	s_wait_alu depctr_sa_sdst(0)
	s_or_b32 exec_lo, exec_lo, s31
	.loc	1 69 43                         ; persistent_matmul.py:69:43
	s_and_b32 s16, s15, s4
	.loc	1 74 25                         ; persistent_matmul.py:74:25
	s_wait_alu depctr_sa_sdst(0)
	s_and_saveexec_b32 s31, s16
	s_cbranch_execz .LBB0_524
.LBB0_573:                              ;   in Loop: Header=BB0_486 Depth=1
	.loc	1 68 56                         ; persistent_matmul.py:68:56
	v_lshlrev_b64_e32 v[35:36], 1, v[10:11]
	s_delay_alu instid0(VALU_DEP_1) | instskip(SKIP_1) | instid1(VALU_DEP_2)
	v_add_co_u32 v35, s16, v33, v35
	s_wait_alu depctr_va_sdst(0)
	v_add_co_ci_u32_e64 v36, null, v34, v36, s16
	.loc	1 74 25                         ; persistent_matmul.py:74:25
	global_store_b16 v[35:36], v32, off
	s_wait_alu depctr_sa_sdst(0)
	s_or_b32 exec_lo, exec_lo, s31
	.loc	1 69 43                         ; persistent_matmul.py:69:43
	s_and_b32 s16, s15, s5
	.loc	1 74 25                         ; persistent_matmul.py:74:25
	s_wait_alu depctr_sa_sdst(0)
	s_and_saveexec_b32 s31, s16
	s_cbranch_execz .LBB0_525
.LBB0_574:                              ;   in Loop: Header=BB0_486 Depth=1
	.loc	1 68 56                         ; persistent_matmul.py:68:56
	v_lshlrev_b64_e32 v[35:36], 1, v[12:13]
	s_delay_alu instid0(VALU_DEP_1) | instskip(SKIP_1) | instid1(VALU_DEP_2)
	v_add_co_u32 v35, s16, v33, v35
	s_wait_alu depctr_va_sdst(0)
	v_add_co_ci_u32_e64 v36, null, v34, v36, s16
	.loc	1 74 25                         ; persistent_matmul.py:74:25
	global_store_b16 v[35:36], v32, off
	s_wait_alu depctr_sa_sdst(0)
	s_or_b32 exec_lo, exec_lo, s31
	.loc	1 69 43                         ; persistent_matmul.py:69:43
	s_and_b32 s16, s15, s6
	.loc	1 74 25                         ; persistent_matmul.py:74:25
	s_wait_alu depctr_sa_sdst(0)
	s_and_saveexec_b32 s31, s16
	s_cbranch_execz .LBB0_526
.LBB0_575:                              ;   in Loop: Header=BB0_486 Depth=1
	.loc	1 68 56                         ; persistent_matmul.py:68:56
	v_lshlrev_b64_e32 v[35:36], 1, v[14:15]
	s_delay_alu instid0(VALU_DEP_1) | instskip(SKIP_1) | instid1(VALU_DEP_2)
	v_add_co_u32 v35, s16, v33, v35
	s_wait_alu depctr_va_sdst(0)
	v_add_co_ci_u32_e64 v36, null, v34, v36, s16
	.loc	1 74 25                         ; persistent_matmul.py:74:25
	global_store_b16 v[35:36], v32, off
	s_wait_alu depctr_sa_sdst(0)
	s_or_b32 exec_lo, exec_lo, s31
	.loc	1 69 43                         ; persistent_matmul.py:69:43
	s_and_b32 s16, s15, s7
	.loc	1 74 25                         ; persistent_matmul.py:74:25
	s_wait_alu depctr_sa_sdst(0)
	s_and_saveexec_b32 s31, s16
	s_cbranch_execz .LBB0_527
.LBB0_576:                              ;   in Loop: Header=BB0_486 Depth=1
	.loc	1 68 56                         ; persistent_matmul.py:68:56
	v_lshlrev_b64_e32 v[35:36], 1, v[16:17]
	s_delay_alu instid0(VALU_DEP_1) | instskip(SKIP_1) | instid1(VALU_DEP_2)
	v_add_co_u32 v35, s16, v33, v35
	s_wait_alu depctr_va_sdst(0)
	v_add_co_ci_u32_e64 v36, null, v34, v36, s16
	.loc	1 74 25                         ; persistent_matmul.py:74:25
	global_store_b16 v[35:36], v32, off
	s_wait_alu depctr_sa_sdst(0)
	s_or_b32 exec_lo, exec_lo, s31
	.loc	1 69 43                         ; persistent_matmul.py:69:43
	s_and_b32 s16, s15, s8
	.loc	1 74 25                         ; persistent_matmul.py:74:25
	s_wait_alu depctr_sa_sdst(0)
	s_and_saveexec_b32 s31, s16
	s_cbranch_execz .LBB0_528
.LBB0_577:                              ;   in Loop: Header=BB0_486 Depth=1
	.loc	1 68 56                         ; persistent_matmul.py:68:56
	v_lshlrev_b64_e32 v[35:36], 1, v[18:19]
	s_delay_alu instid0(VALU_DEP_1) | instskip(SKIP_1) | instid1(VALU_DEP_2)
	v_add_co_u32 v35, s16, v33, v35
	s_wait_alu depctr_va_sdst(0)
	v_add_co_ci_u32_e64 v36, null, v34, v36, s16
	.loc	1 74 25                         ; persistent_matmul.py:74:25
	global_store_b16 v[35:36], v32, off
	s_wait_alu depctr_sa_sdst(0)
	s_or_b32 exec_lo, exec_lo, s31
	.loc	1 69 43                         ; persistent_matmul.py:69:43
	s_and_b32 s16, s15, s9
	.loc	1 74 25                         ; persistent_matmul.py:74:25
	s_wait_alu depctr_sa_sdst(0)
	s_and_saveexec_b32 s31, s16
	s_cbranch_execz .LBB0_529
.LBB0_578:                              ;   in Loop: Header=BB0_486 Depth=1
	.loc	1 68 56                         ; persistent_matmul.py:68:56
	v_lshlrev_b64_e32 v[35:36], 1, v[20:21]
	s_delay_alu instid0(VALU_DEP_1) | instskip(SKIP_1) | instid1(VALU_DEP_2)
	v_add_co_u32 v35, s16, v33, v35
	s_wait_alu depctr_va_sdst(0)
	v_add_co_ci_u32_e64 v36, null, v34, v36, s16
	.loc	1 74 25                         ; persistent_matmul.py:74:25
	global_store_b16 v[35:36], v32, off
	s_wait_alu depctr_sa_sdst(0)
	s_or_b32 exec_lo, exec_lo, s31
	.loc	1 69 43                         ; persistent_matmul.py:69:43
	s_and_b32 s16, s15, s10
	.loc	1 74 25                         ; persistent_matmul.py:74:25
	s_wait_alu depctr_sa_sdst(0)
	s_and_saveexec_b32 s31, s16
	s_cbranch_execz .LBB0_530
.LBB0_579:                              ;   in Loop: Header=BB0_486 Depth=1
	.loc	1 68 56                         ; persistent_matmul.py:68:56
	v_lshlrev_b64_e32 v[35:36], 1, v[22:23]
	s_delay_alu instid0(VALU_DEP_1) | instskip(SKIP_1) | instid1(VALU_DEP_2)
	v_add_co_u32 v35, s16, v33, v35
	s_wait_alu depctr_va_sdst(0)
	v_add_co_ci_u32_e64 v36, null, v34, v36, s16
	.loc	1 74 25                         ; persistent_matmul.py:74:25
	global_store_b16 v[35:36], v32, off
	s_wait_alu depctr_sa_sdst(0)
	s_or_b32 exec_lo, exec_lo, s31
	.loc	1 69 43                         ; persistent_matmul.py:69:43
	s_and_b32 s16, s15, s11
	.loc	1 74 25                         ; persistent_matmul.py:74:25
	s_wait_alu depctr_sa_sdst(0)
	s_and_saveexec_b32 s31, s16
	s_cbranch_execz .LBB0_531
.LBB0_580:                              ;   in Loop: Header=BB0_486 Depth=1
	.loc	1 68 56                         ; persistent_matmul.py:68:56
	v_lshlrev_b64_e32 v[35:36], 1, v[24:25]
	s_delay_alu instid0(VALU_DEP_1) | instskip(SKIP_1) | instid1(VALU_DEP_2)
	v_add_co_u32 v35, s16, v33, v35
	s_wait_alu depctr_va_sdst(0)
	v_add_co_ci_u32_e64 v36, null, v34, v36, s16
	.loc	1 74 25                         ; persistent_matmul.py:74:25
	global_store_b16 v[35:36], v32, off
	s_wait_alu depctr_sa_sdst(0)
	s_or_b32 exec_lo, exec_lo, s31
	.loc	1 69 43                         ; persistent_matmul.py:69:43
	s_and_b32 s16, s15, s12
	.loc	1 74 25                         ; persistent_matmul.py:74:25
	s_wait_alu depctr_sa_sdst(0)
	s_and_saveexec_b32 s31, s16
	s_cbranch_execz .LBB0_532
.LBB0_581:                              ;   in Loop: Header=BB0_486 Depth=1
	.loc	1 68 56                         ; persistent_matmul.py:68:56
	v_lshlrev_b64_e32 v[35:36], 1, v[26:27]
	s_delay_alu instid0(VALU_DEP_1) | instskip(SKIP_1) | instid1(VALU_DEP_2)
	v_add_co_u32 v35, s16, v33, v35
	s_wait_alu depctr_va_sdst(0)
	v_add_co_ci_u32_e64 v36, null, v34, v36, s16
	.loc	1 74 25                         ; persistent_matmul.py:74:25
	global_store_b16 v[35:36], v32, off
	s_wait_alu depctr_sa_sdst(0)
	s_or_b32 exec_lo, exec_lo, s31
	.loc	1 69 43                         ; persistent_matmul.py:69:43
	s_and_b32 s16, s15, s13
	.loc	1 74 25                         ; persistent_matmul.py:74:25
	s_wait_alu depctr_sa_sdst(0)
	s_and_saveexec_b32 s31, s16
	s_cbranch_execz .LBB0_533
.LBB0_582:                              ;   in Loop: Header=BB0_486 Depth=1
	.loc	1 68 56                         ; persistent_matmul.py:68:56
	v_lshlrev_b64_e32 v[35:36], 1, v[28:29]
	s_delay_alu instid0(VALU_DEP_1) | instskip(SKIP_1) | instid1(VALU_DEP_2)
	v_add_co_u32 v35, s16, v33, v35
	s_wait_alu depctr_va_sdst(0)
	v_add_co_ci_u32_e64 v36, null, v34, v36, s16
	.loc	1 74 25                         ; persistent_matmul.py:74:25
	global_store_b16 v[35:36], v32, off
	s_wait_alu depctr_sa_sdst(0)
	s_or_b32 exec_lo, exec_lo, s31
	.loc	1 69 43                         ; persistent_matmul.py:69:43
	s_and_b32 s15, s15, s14
	.loc	1 74 25                         ; persistent_matmul.py:74:25
	s_wait_alu depctr_sa_sdst(0)
	s_and_saveexec_b32 s16, s15
	s_cbranch_execnz .LBB0_534
	s_branch .LBB0_535
.LBB0_583:                              ;   in Loop: Header=BB0_486 Depth=1
	.loc	1 68 56                         ; persistent_matmul.py:68:56
	v_lshlrev_b64_e32 v[35:36], 1, v[0:1]
	s_delay_alu instid0(VALU_DEP_1) | instskip(SKIP_1) | instid1(VALU_DEP_2)
	v_add_co_u32 v35, s16, v33, v35
	s_wait_alu depctr_va_sdst(0)
	v_add_co_ci_u32_e64 v36, null, v34, v36, s16
	.loc	1 74 25                         ; persistent_matmul.py:74:25
	global_store_b16 v[35:36], v32, off
	s_wait_alu depctr_sa_sdst(0)
	s_or_b32 exec_lo, exec_lo, s31
	.loc	1 69 43                         ; persistent_matmul.py:69:43
	s_and_b32 s16, s15, s0
	.loc	1 74 25                         ; persistent_matmul.py:74:25
	s_wait_alu depctr_sa_sdst(0)
	s_and_saveexec_b32 s31, s16
	s_cbranch_execz .LBB0_537
.LBB0_584:                              ;   in Loop: Header=BB0_486 Depth=1
	.loc	1 68 56                         ; persistent_matmul.py:68:56
	v_lshlrev_b64_e32 v[35:36], 1, v[2:3]
	s_delay_alu instid0(VALU_DEP_1) | instskip(SKIP_1) | instid1(VALU_DEP_2)
	v_add_co_u32 v35, s16, v33, v35
	s_wait_alu depctr_va_sdst(0)
	v_add_co_ci_u32_e64 v36, null, v34, v36, s16
	.loc	1 74 25                         ; persistent_matmul.py:74:25
	global_store_b16 v[35:36], v32, off
	s_wait_alu depctr_sa_sdst(0)
	s_or_b32 exec_lo, exec_lo, s31
	.loc	1 69 43                         ; persistent_matmul.py:69:43
	s_and_b32 s16, s15, s1
	.loc	1 74 25                         ; persistent_matmul.py:74:25
	s_wait_alu depctr_sa_sdst(0)
	s_and_saveexec_b32 s31, s16
	s_cbranch_execz .LBB0_538
.LBB0_585:                              ;   in Loop: Header=BB0_486 Depth=1
	.loc	1 68 56                         ; persistent_matmul.py:68:56
	v_lshlrev_b64_e32 v[35:36], 1, v[4:5]
	s_delay_alu instid0(VALU_DEP_1) | instskip(SKIP_1) | instid1(VALU_DEP_2)
	v_add_co_u32 v35, s16, v33, v35
	s_wait_alu depctr_va_sdst(0)
	v_add_co_ci_u32_e64 v36, null, v34, v36, s16
	.loc	1 74 25                         ; persistent_matmul.py:74:25
	global_store_b16 v[35:36], v32, off
	s_wait_alu depctr_sa_sdst(0)
	s_or_b32 exec_lo, exec_lo, s31
	.loc	1 69 43                         ; persistent_matmul.py:69:43
	s_and_b32 s16, s15, s2
	.loc	1 74 25                         ; persistent_matmul.py:74:25
	s_wait_alu depctr_sa_sdst(0)
	s_and_saveexec_b32 s31, s16
	s_cbranch_execz .LBB0_539
.LBB0_586:                              ;   in Loop: Header=BB0_486 Depth=1
	.loc	1 68 56                         ; persistent_matmul.py:68:56
	v_lshlrev_b64_e32 v[35:36], 1, v[6:7]
	s_delay_alu instid0(VALU_DEP_1) | instskip(SKIP_1) | instid1(VALU_DEP_2)
	v_add_co_u32 v35, s16, v33, v35
	s_wait_alu depctr_va_sdst(0)
	v_add_co_ci_u32_e64 v36, null, v34, v36, s16
	.loc	1 74 25                         ; persistent_matmul.py:74:25
	global_store_b16 v[35:36], v32, off
	s_wait_alu depctr_sa_sdst(0)
	s_or_b32 exec_lo, exec_lo, s31
	.loc	1 69 43                         ; persistent_matmul.py:69:43
	s_and_b32 s16, s15, s3
	.loc	1 74 25                         ; persistent_matmul.py:74:25
	s_wait_alu depctr_sa_sdst(0)
	s_and_saveexec_b32 s31, s16
	s_cbranch_execz .LBB0_540
.LBB0_587:                              ;   in Loop: Header=BB0_486 Depth=1
	.loc	1 68 56                         ; persistent_matmul.py:68:56
	v_lshlrev_b64_e32 v[35:36], 1, v[8:9]
	s_delay_alu instid0(VALU_DEP_1) | instskip(SKIP_1) | instid1(VALU_DEP_2)
	v_add_co_u32 v35, s16, v33, v35
	s_wait_alu depctr_va_sdst(0)
	v_add_co_ci_u32_e64 v36, null, v34, v36, s16
	.loc	1 74 25                         ; persistent_matmul.py:74:25
	global_store_b16 v[35:36], v32, off
	s_wait_alu depctr_sa_sdst(0)
	s_or_b32 exec_lo, exec_lo, s31
	.loc	1 69 43                         ; persistent_matmul.py:69:43
	s_and_b32 s16, s15, s4
	.loc	1 74 25                         ; persistent_matmul.py:74:25
	s_wait_alu depctr_sa_sdst(0)
	s_and_saveexec_b32 s31, s16
	s_cbranch_execz .LBB0_541
.LBB0_588:                              ;   in Loop: Header=BB0_486 Depth=1
	.loc	1 68 56                         ; persistent_matmul.py:68:56
	v_lshlrev_b64_e32 v[35:36], 1, v[10:11]
	s_delay_alu instid0(VALU_DEP_1) | instskip(SKIP_1) | instid1(VALU_DEP_2)
	v_add_co_u32 v35, s16, v33, v35
	s_wait_alu depctr_va_sdst(0)
	v_add_co_ci_u32_e64 v36, null, v34, v36, s16
	.loc	1 74 25                         ; persistent_matmul.py:74:25
	global_store_b16 v[35:36], v32, off
	s_wait_alu depctr_sa_sdst(0)
	s_or_b32 exec_lo, exec_lo, s31
	.loc	1 69 43                         ; persistent_matmul.py:69:43
	s_and_b32 s16, s15, s5
	.loc	1 74 25                         ; persistent_matmul.py:74:25
	s_wait_alu depctr_sa_sdst(0)
	s_and_saveexec_b32 s31, s16
	s_cbranch_execz .LBB0_542
.LBB0_589:                              ;   in Loop: Header=BB0_486 Depth=1
	.loc	1 68 56                         ; persistent_matmul.py:68:56
	v_lshlrev_b64_e32 v[35:36], 1, v[12:13]
	s_delay_alu instid0(VALU_DEP_1) | instskip(SKIP_1) | instid1(VALU_DEP_2)
	v_add_co_u32 v35, s16, v33, v35
	s_wait_alu depctr_va_sdst(0)
	v_add_co_ci_u32_e64 v36, null, v34, v36, s16
	.loc	1 74 25                         ; persistent_matmul.py:74:25
	global_store_b16 v[35:36], v32, off
	s_wait_alu depctr_sa_sdst(0)
	s_or_b32 exec_lo, exec_lo, s31
	.loc	1 69 43                         ; persistent_matmul.py:69:43
	s_and_b32 s16, s15, s6
	.loc	1 74 25                         ; persistent_matmul.py:74:25
	s_wait_alu depctr_sa_sdst(0)
	s_and_saveexec_b32 s31, s16
	s_cbranch_execz .LBB0_543
.LBB0_590:                              ;   in Loop: Header=BB0_486 Depth=1
	.loc	1 68 56                         ; persistent_matmul.py:68:56
	v_lshlrev_b64_e32 v[35:36], 1, v[14:15]
	s_delay_alu instid0(VALU_DEP_1) | instskip(SKIP_1) | instid1(VALU_DEP_2)
	v_add_co_u32 v35, s16, v33, v35
	s_wait_alu depctr_va_sdst(0)
	v_add_co_ci_u32_e64 v36, null, v34, v36, s16
	.loc	1 74 25                         ; persistent_matmul.py:74:25
	global_store_b16 v[35:36], v32, off
	s_wait_alu depctr_sa_sdst(0)
	s_or_b32 exec_lo, exec_lo, s31
	.loc	1 69 43                         ; persistent_matmul.py:69:43
	s_and_b32 s16, s15, s7
	.loc	1 74 25                         ; persistent_matmul.py:74:25
	s_wait_alu depctr_sa_sdst(0)
	s_and_saveexec_b32 s31, s16
	s_cbranch_execz .LBB0_544
.LBB0_591:                              ;   in Loop: Header=BB0_486 Depth=1
	.loc	1 68 56                         ; persistent_matmul.py:68:56
	v_lshlrev_b64_e32 v[35:36], 1, v[16:17]
	s_delay_alu instid0(VALU_DEP_1) | instskip(SKIP_1) | instid1(VALU_DEP_2)
	v_add_co_u32 v35, s16, v33, v35
	s_wait_alu depctr_va_sdst(0)
	v_add_co_ci_u32_e64 v36, null, v34, v36, s16
	.loc	1 74 25                         ; persistent_matmul.py:74:25
	global_store_b16 v[35:36], v32, off
	s_wait_alu depctr_sa_sdst(0)
	s_or_b32 exec_lo, exec_lo, s31
	.loc	1 69 43                         ; persistent_matmul.py:69:43
	s_and_b32 s16, s15, s8
	.loc	1 74 25                         ; persistent_matmul.py:74:25
	s_wait_alu depctr_sa_sdst(0)
	s_and_saveexec_b32 s31, s16
	s_cbranch_execz .LBB0_545
.LBB0_592:                              ;   in Loop: Header=BB0_486 Depth=1
	.loc	1 68 56                         ; persistent_matmul.py:68:56
	v_lshlrev_b64_e32 v[35:36], 1, v[18:19]
	s_delay_alu instid0(VALU_DEP_1) | instskip(SKIP_1) | instid1(VALU_DEP_2)
	v_add_co_u32 v35, s16, v33, v35
	s_wait_alu depctr_va_sdst(0)
	v_add_co_ci_u32_e64 v36, null, v34, v36, s16
	.loc	1 74 25                         ; persistent_matmul.py:74:25
	global_store_b16 v[35:36], v32, off
	s_wait_alu depctr_sa_sdst(0)
	s_or_b32 exec_lo, exec_lo, s31
	.loc	1 69 43                         ; persistent_matmul.py:69:43
	s_and_b32 s16, s15, s9
	.loc	1 74 25                         ; persistent_matmul.py:74:25
	s_wait_alu depctr_sa_sdst(0)
	s_and_saveexec_b32 s31, s16
	s_cbranch_execz .LBB0_546
.LBB0_593:                              ;   in Loop: Header=BB0_486 Depth=1
	.loc	1 68 56                         ; persistent_matmul.py:68:56
	v_lshlrev_b64_e32 v[35:36], 1, v[20:21]
	s_delay_alu instid0(VALU_DEP_1) | instskip(SKIP_1) | instid1(VALU_DEP_2)
	v_add_co_u32 v35, s16, v33, v35
	s_wait_alu depctr_va_sdst(0)
	v_add_co_ci_u32_e64 v36, null, v34, v36, s16
	.loc	1 74 25                         ; persistent_matmul.py:74:25
	global_store_b16 v[35:36], v32, off
	s_wait_alu depctr_sa_sdst(0)
	s_or_b32 exec_lo, exec_lo, s31
	.loc	1 69 43                         ; persistent_matmul.py:69:43
	s_and_b32 s16, s15, s10
	.loc	1 74 25                         ; persistent_matmul.py:74:25
	s_wait_alu depctr_sa_sdst(0)
	s_and_saveexec_b32 s31, s16
	s_cbranch_execz .LBB0_547
.LBB0_594:                              ;   in Loop: Header=BB0_486 Depth=1
	.loc	1 68 56                         ; persistent_matmul.py:68:56
	v_lshlrev_b64_e32 v[35:36], 1, v[22:23]
	s_delay_alu instid0(VALU_DEP_1) | instskip(SKIP_1) | instid1(VALU_DEP_2)
	v_add_co_u32 v35, s16, v33, v35
	s_wait_alu depctr_va_sdst(0)
	v_add_co_ci_u32_e64 v36, null, v34, v36, s16
	.loc	1 74 25                         ; persistent_matmul.py:74:25
	global_store_b16 v[35:36], v32, off
	s_wait_alu depctr_sa_sdst(0)
	s_or_b32 exec_lo, exec_lo, s31
	.loc	1 69 43                         ; persistent_matmul.py:69:43
	s_and_b32 s16, s15, s11
	.loc	1 74 25                         ; persistent_matmul.py:74:25
	s_wait_alu depctr_sa_sdst(0)
	s_and_saveexec_b32 s31, s16
	s_cbranch_execz .LBB0_548
.LBB0_595:                              ;   in Loop: Header=BB0_486 Depth=1
	.loc	1 68 56                         ; persistent_matmul.py:68:56
	v_lshlrev_b64_e32 v[35:36], 1, v[24:25]
	s_delay_alu instid0(VALU_DEP_1) | instskip(SKIP_1) | instid1(VALU_DEP_2)
	v_add_co_u32 v35, s16, v33, v35
	s_wait_alu depctr_va_sdst(0)
	v_add_co_ci_u32_e64 v36, null, v34, v36, s16
	.loc	1 74 25                         ; persistent_matmul.py:74:25
	global_store_b16 v[35:36], v32, off
	s_wait_alu depctr_sa_sdst(0)
	s_or_b32 exec_lo, exec_lo, s31
	.loc	1 69 43                         ; persistent_matmul.py:69:43
	s_and_b32 s16, s15, s12
	.loc	1 74 25                         ; persistent_matmul.py:74:25
	s_wait_alu depctr_sa_sdst(0)
	s_and_saveexec_b32 s31, s16
	s_cbranch_execz .LBB0_549
.LBB0_596:                              ;   in Loop: Header=BB0_486 Depth=1
	.loc	1 68 56                         ; persistent_matmul.py:68:56
	v_lshlrev_b64_e32 v[35:36], 1, v[26:27]
	s_delay_alu instid0(VALU_DEP_1) | instskip(SKIP_1) | instid1(VALU_DEP_2)
	v_add_co_u32 v35, s16, v33, v35
	s_wait_alu depctr_va_sdst(0)
	v_add_co_ci_u32_e64 v36, null, v34, v36, s16
	.loc	1 74 25                         ; persistent_matmul.py:74:25
	global_store_b16 v[35:36], v32, off
	s_wait_alu depctr_sa_sdst(0)
	s_or_b32 exec_lo, exec_lo, s31
	.loc	1 69 43                         ; persistent_matmul.py:69:43
	s_and_b32 s16, s15, s13
	.loc	1 74 25                         ; persistent_matmul.py:74:25
	s_wait_alu depctr_sa_sdst(0)
	s_and_saveexec_b32 s31, s16
	s_cbranch_execz .LBB0_550
.LBB0_597:                              ;   in Loop: Header=BB0_486 Depth=1
	.loc	1 68 56                         ; persistent_matmul.py:68:56
	v_lshlrev_b64_e32 v[35:36], 1, v[28:29]
	s_delay_alu instid0(VALU_DEP_1) | instskip(SKIP_1) | instid1(VALU_DEP_2)
	v_add_co_u32 v35, s16, v33, v35
	s_wait_alu depctr_va_sdst(0)
	v_add_co_ci_u32_e64 v36, null, v34, v36, s16
	.loc	1 74 25                         ; persistent_matmul.py:74:25
	global_store_b16 v[35:36], v32, off
	s_wait_alu depctr_sa_sdst(0)
	s_or_b32 exec_lo, exec_lo, s31
	.loc	1 69 43                         ; persistent_matmul.py:69:43
	s_and_b32 s15, s15, s14
	.loc	1 74 25                         ; persistent_matmul.py:74:25
	s_wait_alu depctr_sa_sdst(0)
	s_and_saveexec_b32 s16, s15
	s_cbranch_execnz .LBB0_551
	s_branch .LBB0_552
.LBB0_598:                              ;   in Loop: Header=BB0_486 Depth=1
	.loc	1 68 56                         ; persistent_matmul.py:68:56
	v_lshlrev_b64_e32 v[0:1], 1, v[0:1]
	s_delay_alu instid0(VALU_DEP_1) | instskip(SKIP_1) | instid1(VALU_DEP_2)
	v_add_co_u32 v0, vcc_lo, v33, v0
	s_wait_alu depctr_va_vcc(0)
	v_add_co_ci_u32_e64 v1, null, v34, v1, vcc_lo
	.loc	1 74 25                         ; persistent_matmul.py:74:25
	global_store_b16 v[0:1], v32, off
	s_wait_alu depctr_sa_sdst(0)
	s_or_b32 exec_lo, exec_lo, s16
	.loc	1 69 43                         ; persistent_matmul.py:69:43
	s_and_b32 s16, s15, s0
	.loc	1 74 25                         ; persistent_matmul.py:74:25
	s_wait_alu depctr_sa_sdst(0)
	s_and_saveexec_b32 s0, s16
	s_cbranch_execz .LBB0_554
.LBB0_599:                              ;   in Loop: Header=BB0_486 Depth=1
	.loc	1 68 56                         ; persistent_matmul.py:68:56
	v_lshlrev_b64_e32 v[0:1], 1, v[2:3]
	s_delay_alu instid0(VALU_DEP_1) | instskip(SKIP_1) | instid1(VALU_DEP_2)
	v_add_co_u32 v0, vcc_lo, v33, v0
	s_wait_alu depctr_va_vcc(0)
	v_add_co_ci_u32_e64 v1, null, v34, v1, vcc_lo
	.loc	1 74 25                         ; persistent_matmul.py:74:25
	global_store_b16 v[0:1], v32, off
	s_wait_alu depctr_sa_sdst(0)
	s_or_b32 exec_lo, exec_lo, s0
	.loc	1 69 43                         ; persistent_matmul.py:69:43
	s_and_b32 s1, s15, s1
	.loc	1 74 25                         ; persistent_matmul.py:74:25
	s_wait_alu depctr_sa_sdst(0)
	s_and_saveexec_b32 s0, s1
	s_cbranch_execz .LBB0_555
.LBB0_600:                              ;   in Loop: Header=BB0_486 Depth=1
	.loc	1 68 56                         ; persistent_matmul.py:68:56
	v_lshlrev_b64_e32 v[0:1], 1, v[4:5]
	s_delay_alu instid0(VALU_DEP_1) | instskip(SKIP_1) | instid1(VALU_DEP_2)
	v_add_co_u32 v0, vcc_lo, v33, v0
	s_wait_alu depctr_va_vcc(0)
	v_add_co_ci_u32_e64 v1, null, v34, v1, vcc_lo
	.loc	1 74 25                         ; persistent_matmul.py:74:25
	global_store_b16 v[0:1], v32, off
	s_wait_alu depctr_sa_sdst(0)
	s_or_b32 exec_lo, exec_lo, s0
	.loc	1 69 43                         ; persistent_matmul.py:69:43
	s_and_b32 s1, s15, s2
	.loc	1 74 25                         ; persistent_matmul.py:74:25
	s_wait_alu depctr_sa_sdst(0)
	s_and_saveexec_b32 s0, s1
	s_cbranch_execz .LBB0_556
.LBB0_601:                              ;   in Loop: Header=BB0_486 Depth=1
	.loc	1 68 56                         ; persistent_matmul.py:68:56
	v_lshlrev_b64_e32 v[0:1], 1, v[6:7]
	s_delay_alu instid0(VALU_DEP_1) | instskip(SKIP_1) | instid1(VALU_DEP_2)
	v_add_co_u32 v0, vcc_lo, v33, v0
	s_wait_alu depctr_va_vcc(0)
	v_add_co_ci_u32_e64 v1, null, v34, v1, vcc_lo
	.loc	1 74 25                         ; persistent_matmul.py:74:25
	global_store_b16 v[0:1], v32, off
	s_wait_alu depctr_sa_sdst(0)
	s_or_b32 exec_lo, exec_lo, s0
	.loc	1 69 43                         ; persistent_matmul.py:69:43
	s_and_b32 s1, s15, s3
	.loc	1 74 25                         ; persistent_matmul.py:74:25
	s_wait_alu depctr_sa_sdst(0)
	s_and_saveexec_b32 s0, s1
	s_cbranch_execz .LBB0_557
.LBB0_602:                              ;   in Loop: Header=BB0_486 Depth=1
	.loc	1 68 56                         ; persistent_matmul.py:68:56
	v_lshlrev_b64_e32 v[0:1], 1, v[8:9]
	s_delay_alu instid0(VALU_DEP_1) | instskip(SKIP_1) | instid1(VALU_DEP_2)
	v_add_co_u32 v0, vcc_lo, v33, v0
	s_wait_alu depctr_va_vcc(0)
	v_add_co_ci_u32_e64 v1, null, v34, v1, vcc_lo
	.loc	1 74 25                         ; persistent_matmul.py:74:25
	global_store_b16 v[0:1], v32, off
	s_wait_alu depctr_sa_sdst(0)
	s_or_b32 exec_lo, exec_lo, s0
	.loc	1 69 43                         ; persistent_matmul.py:69:43
	s_and_b32 s1, s15, s4
	.loc	1 74 25                         ; persistent_matmul.py:74:25
	s_wait_alu depctr_sa_sdst(0)
	s_and_saveexec_b32 s0, s1
	s_cbranch_execz .LBB0_558
.LBB0_603:                              ;   in Loop: Header=BB0_486 Depth=1
	.loc	1 68 56                         ; persistent_matmul.py:68:56
	v_lshlrev_b64_e32 v[0:1], 1, v[10:11]
	s_delay_alu instid0(VALU_DEP_1) | instskip(SKIP_1) | instid1(VALU_DEP_2)
	v_add_co_u32 v0, vcc_lo, v33, v0
	s_wait_alu depctr_va_vcc(0)
	v_add_co_ci_u32_e64 v1, null, v34, v1, vcc_lo
	.loc	1 74 25                         ; persistent_matmul.py:74:25
	global_store_b16 v[0:1], v32, off
	s_wait_alu depctr_sa_sdst(0)
	s_or_b32 exec_lo, exec_lo, s0
	.loc	1 69 43                         ; persistent_matmul.py:69:43
	s_and_b32 s1, s15, s5
	.loc	1 74 25                         ; persistent_matmul.py:74:25
	s_wait_alu depctr_sa_sdst(0)
	s_and_saveexec_b32 s0, s1
	s_cbranch_execz .LBB0_559
.LBB0_604:                              ;   in Loop: Header=BB0_486 Depth=1
	.loc	1 68 56                         ; persistent_matmul.py:68:56
	v_lshlrev_b64_e32 v[0:1], 1, v[12:13]
	s_delay_alu instid0(VALU_DEP_1) | instskip(SKIP_1) | instid1(VALU_DEP_2)
	v_add_co_u32 v0, vcc_lo, v33, v0
	s_wait_alu depctr_va_vcc(0)
	v_add_co_ci_u32_e64 v1, null, v34, v1, vcc_lo
	.loc	1 74 25                         ; persistent_matmul.py:74:25
	global_store_b16 v[0:1], v32, off
	s_wait_alu depctr_sa_sdst(0)
	s_or_b32 exec_lo, exec_lo, s0
	.loc	1 69 43                         ; persistent_matmul.py:69:43
	s_and_b32 s1, s15, s6
	.loc	1 74 25                         ; persistent_matmul.py:74:25
	s_wait_alu depctr_sa_sdst(0)
	s_and_saveexec_b32 s0, s1
	s_cbranch_execz .LBB0_560
.LBB0_605:                              ;   in Loop: Header=BB0_486 Depth=1
	.loc	1 68 56                         ; persistent_matmul.py:68:56
	v_lshlrev_b64_e32 v[0:1], 1, v[14:15]
	s_delay_alu instid0(VALU_DEP_1) | instskip(SKIP_1) | instid1(VALU_DEP_2)
	v_add_co_u32 v0, vcc_lo, v33, v0
	s_wait_alu depctr_va_vcc(0)
	v_add_co_ci_u32_e64 v1, null, v34, v1, vcc_lo
	.loc	1 74 25                         ; persistent_matmul.py:74:25
	global_store_b16 v[0:1], v32, off
	s_wait_alu depctr_sa_sdst(0)
	s_or_b32 exec_lo, exec_lo, s0
	.loc	1 69 43                         ; persistent_matmul.py:69:43
	s_and_b32 s1, s15, s7
	.loc	1 74 25                         ; persistent_matmul.py:74:25
	s_wait_alu depctr_sa_sdst(0)
	s_and_saveexec_b32 s0, s1
	s_cbranch_execz .LBB0_561
.LBB0_606:                              ;   in Loop: Header=BB0_486 Depth=1
	.loc	1 68 56                         ; persistent_matmul.py:68:56
	v_lshlrev_b64_e32 v[0:1], 1, v[16:17]
	s_delay_alu instid0(VALU_DEP_1) | instskip(SKIP_1) | instid1(VALU_DEP_2)
	v_add_co_u32 v0, vcc_lo, v33, v0
	s_wait_alu depctr_va_vcc(0)
	v_add_co_ci_u32_e64 v1, null, v34, v1, vcc_lo
	.loc	1 74 25                         ; persistent_matmul.py:74:25
	global_store_b16 v[0:1], v32, off
	s_wait_alu depctr_sa_sdst(0)
	s_or_b32 exec_lo, exec_lo, s0
	.loc	1 69 43                         ; persistent_matmul.py:69:43
	s_and_b32 s1, s15, s8
	.loc	1 74 25                         ; persistent_matmul.py:74:25
	s_wait_alu depctr_sa_sdst(0)
	s_and_saveexec_b32 s0, s1
	s_cbranch_execz .LBB0_562
.LBB0_607:                              ;   in Loop: Header=BB0_486 Depth=1
	.loc	1 68 56                         ; persistent_matmul.py:68:56
	v_lshlrev_b64_e32 v[0:1], 1, v[18:19]
	s_delay_alu instid0(VALU_DEP_1) | instskip(SKIP_1) | instid1(VALU_DEP_2)
	v_add_co_u32 v0, vcc_lo, v33, v0
	s_wait_alu depctr_va_vcc(0)
	v_add_co_ci_u32_e64 v1, null, v34, v1, vcc_lo
	.loc	1 74 25                         ; persistent_matmul.py:74:25
	global_store_b16 v[0:1], v32, off
	s_wait_alu depctr_sa_sdst(0)
	s_or_b32 exec_lo, exec_lo, s0
	.loc	1 69 43                         ; persistent_matmul.py:69:43
	s_and_b32 s1, s15, s9
	.loc	1 74 25                         ; persistent_matmul.py:74:25
	s_wait_alu depctr_sa_sdst(0)
	s_and_saveexec_b32 s0, s1
	s_cbranch_execz .LBB0_563
.LBB0_608:                              ;   in Loop: Header=BB0_486 Depth=1
	.loc	1 68 56                         ; persistent_matmul.py:68:56
	v_lshlrev_b64_e32 v[0:1], 1, v[20:21]
	s_delay_alu instid0(VALU_DEP_1) | instskip(SKIP_1) | instid1(VALU_DEP_2)
	v_add_co_u32 v0, vcc_lo, v33, v0
	s_wait_alu depctr_va_vcc(0)
	v_add_co_ci_u32_e64 v1, null, v34, v1, vcc_lo
	.loc	1 74 25                         ; persistent_matmul.py:74:25
	global_store_b16 v[0:1], v32, off
	s_wait_alu depctr_sa_sdst(0)
	s_or_b32 exec_lo, exec_lo, s0
	.loc	1 69 43                         ; persistent_matmul.py:69:43
	s_and_b32 s1, s15, s10
	.loc	1 74 25                         ; persistent_matmul.py:74:25
	s_wait_alu depctr_sa_sdst(0)
	s_and_saveexec_b32 s0, s1
	s_cbranch_execz .LBB0_564
.LBB0_609:                              ;   in Loop: Header=BB0_486 Depth=1
	.loc	1 68 56                         ; persistent_matmul.py:68:56
	v_lshlrev_b64_e32 v[0:1], 1, v[22:23]
	s_delay_alu instid0(VALU_DEP_1) | instskip(SKIP_1) | instid1(VALU_DEP_2)
	v_add_co_u32 v0, vcc_lo, v33, v0
	s_wait_alu depctr_va_vcc(0)
	v_add_co_ci_u32_e64 v1, null, v34, v1, vcc_lo
	.loc	1 74 25                         ; persistent_matmul.py:74:25
	global_store_b16 v[0:1], v32, off
	s_wait_alu depctr_sa_sdst(0)
	s_or_b32 exec_lo, exec_lo, s0
	.loc	1 69 43                         ; persistent_matmul.py:69:43
	s_and_b32 s1, s15, s11
	.loc	1 74 25                         ; persistent_matmul.py:74:25
	s_wait_alu depctr_sa_sdst(0)
	s_and_saveexec_b32 s0, s1
	s_cbranch_execz .LBB0_565
.LBB0_610:                              ;   in Loop: Header=BB0_486 Depth=1
	.loc	1 68 56                         ; persistent_matmul.py:68:56
	v_lshlrev_b64_e32 v[0:1], 1, v[24:25]
	s_delay_alu instid0(VALU_DEP_1) | instskip(SKIP_1) | instid1(VALU_DEP_2)
	v_add_co_u32 v0, vcc_lo, v33, v0
	s_wait_alu depctr_va_vcc(0)
	v_add_co_ci_u32_e64 v1, null, v34, v1, vcc_lo
	.loc	1 74 25                         ; persistent_matmul.py:74:25
	global_store_b16 v[0:1], v32, off
	s_wait_alu depctr_sa_sdst(0)
	s_or_b32 exec_lo, exec_lo, s0
	.loc	1 69 43                         ; persistent_matmul.py:69:43
	s_and_b32 s1, s15, s12
	.loc	1 74 25                         ; persistent_matmul.py:74:25
	s_wait_alu depctr_sa_sdst(0)
	s_and_saveexec_b32 s0, s1
	s_cbranch_execz .LBB0_566
.LBB0_611:                              ;   in Loop: Header=BB0_486 Depth=1
	.loc	1 68 56                         ; persistent_matmul.py:68:56
	v_lshlrev_b64_e32 v[0:1], 1, v[26:27]
	s_delay_alu instid0(VALU_DEP_1) | instskip(SKIP_1) | instid1(VALU_DEP_2)
	v_add_co_u32 v0, vcc_lo, v33, v0
	s_wait_alu depctr_va_vcc(0)
	v_add_co_ci_u32_e64 v1, null, v34, v1, vcc_lo
	.loc	1 74 25                         ; persistent_matmul.py:74:25
	global_store_b16 v[0:1], v32, off
	s_wait_alu depctr_sa_sdst(0)
	s_or_b32 exec_lo, exec_lo, s0
	.loc	1 69 43                         ; persistent_matmul.py:69:43
	s_and_b32 s1, s15, s13
	.loc	1 74 25                         ; persistent_matmul.py:74:25
	s_wait_alu depctr_sa_sdst(0)
	s_and_saveexec_b32 s0, s1
	s_cbranch_execz .LBB0_567
.LBB0_612:                              ;   in Loop: Header=BB0_486 Depth=1
	.loc	1 68 56                         ; persistent_matmul.py:68:56
	v_lshlrev_b64_e32 v[0:1], 1, v[28:29]
	s_delay_alu instid0(VALU_DEP_1) | instskip(SKIP_1) | instid1(VALU_DEP_2)
	v_add_co_u32 v0, vcc_lo, v33, v0
	s_wait_alu depctr_va_vcc(0)
	v_add_co_ci_u32_e64 v1, null, v34, v1, vcc_lo
	.loc	1 74 25                         ; persistent_matmul.py:74:25
	global_store_b16 v[0:1], v32, off
	s_wait_alu depctr_sa_sdst(0)
	s_or_b32 exec_lo, exec_lo, s0
	.loc	1 69 43                         ; persistent_matmul.py:69:43
	s_and_b32 s1, s15, s14
	.loc	1 74 25                         ; persistent_matmul.py:74:25
	s_wait_alu depctr_sa_sdst(0)
	s_and_saveexec_b32 s0, s1
	s_cbranch_execz .LBB0_485
.LBB0_613:                              ;   in Loop: Header=BB0_486 Depth=1
	.loc	1 68 56                         ; persistent_matmul.py:68:56
	v_lshlrev_b64_e32 v[0:1], 1, v[30:31]
	s_delay_alu instid0(VALU_DEP_1) | instskip(SKIP_1) | instid1(VALU_DEP_2)
	v_add_co_u32 v0, vcc_lo, v33, v0
	s_wait_alu depctr_va_vcc(0)
	v_add_co_ci_u32_e64 v1, null, v34, v1, vcc_lo
	.loc	1 74 25                         ; persistent_matmul.py:74:25
	global_store_b16 v[0:1], v32, off
	s_branch .LBB0_485
.LBB0_614:                              ; %.loopexit
	.loc	1 43 4                          ; persistent_matmul.py:43:4
	s_nop 0
	s_sendmsg sendmsg(MSG_DEALLOC_VGPRS)
	s_endpgm
.LBB0_615:
	.loc	1 68 56                         ; persistent_matmul.py:68:56
	v_lshlrev_b64_e32 v[82:83], 1, v[64:65]
	.loc	1 73 31                         ; persistent_matmul.py:73:31
	v_cvt_f16_f32_e32 v40, v40
	s_delay_alu instid0(VALU_DEP_2) | instskip(SKIP_1) | instid1(VALU_DEP_3)
	.loc	1 68 56                         ; persistent_matmul.py:68:56
	v_add_co_u32 v82, s16, v54, v82
	s_wait_alu depctr_va_sdst(0)
	v_add_co_ci_u32_e64 v83, null, v55, v83, s16
	.loc	1 74 25                         ; persistent_matmul.py:74:25
	global_store_b16 v[82:83], v40, off
	s_or_b32 exec_lo, exec_lo, s24
	.loc	1 69 43                         ; persistent_matmul.py:69:43
	s_and_b32 s16, s15, s0
	.loc	1 74 25                         ; persistent_matmul.py:74:25
	s_wait_alu depctr_sa_sdst(0)
	s_and_saveexec_b32 s24, s16
	s_cbranch_execz .LBB0_431
.LBB0_616:
	.loc	1 68 56                         ; persistent_matmul.py:68:56
	v_lshlrev_b64_e32 v[82:83], 1, v[66:67]
	.loc	1 73 31                         ; persistent_matmul.py:73:31
	v_cvt_f16_f32_e32 v40, v41
	s_delay_alu instid0(VALU_DEP_2) | instskip(SKIP_1) | instid1(VALU_DEP_3)
	.loc	1 68 56                         ; persistent_matmul.py:68:56
	v_add_co_u32 v82, s16, v54, v82
	s_wait_alu depctr_va_sdst(0)
	v_add_co_ci_u32_e64 v83, null, v55, v83, s16
	.loc	1 74 25                         ; persistent_matmul.py:74:25
	global_store_b16 v[82:83], v40, off
	s_or_b32 exec_lo, exec_lo, s24
	.loc	1 69 43                         ; persistent_matmul.py:69:43
	s_and_b32 s16, s15, s1
	.loc	1 74 25                         ; persistent_matmul.py:74:25
	s_wait_alu depctr_sa_sdst(0)
	s_and_saveexec_b32 s24, s16
	s_cbranch_execz .LBB0_432
.LBB0_617:
	.loc	1 68 56                         ; persistent_matmul.py:68:56
	v_lshlrev_b64_e32 v[40:41], 1, v[56:57]
	.loc	1 73 31                         ; persistent_matmul.py:73:31
	v_cvt_f16_f32_e32 v42, v42
	s_delay_alu instid0(VALU_DEP_2) | instskip(SKIP_1) | instid1(VALU_DEP_3)
	.loc	1 68 56                         ; persistent_matmul.py:68:56
	v_add_co_u32 v40, s16, v54, v40
	s_wait_alu depctr_va_sdst(0)
	v_add_co_ci_u32_e64 v41, null, v55, v41, s16
	.loc	1 74 25                         ; persistent_matmul.py:74:25
	global_store_b16 v[40:41], v42, off
	s_or_b32 exec_lo, exec_lo, s24
	.loc	1 69 43                         ; persistent_matmul.py:69:43
	s_and_b32 s16, s15, s2
	.loc	1 74 25                         ; persistent_matmul.py:74:25
	s_wait_alu depctr_sa_sdst(0)
	s_and_saveexec_b32 s24, s16
	s_cbranch_execz .LBB0_433
.LBB0_618:
	.loc	1 68 56                         ; persistent_matmul.py:68:56
	v_lshlrev_b64_e32 v[40:41], 1, v[68:69]
	.loc	1 73 31                         ; persistent_matmul.py:73:31
	v_cvt_f16_f32_e32 v42, v43
	s_delay_alu instid0(VALU_DEP_2) | instskip(SKIP_1) | instid1(VALU_DEP_3)
	.loc	1 68 56                         ; persistent_matmul.py:68:56
	v_add_co_u32 v40, s16, v54, v40
	s_wait_alu depctr_va_sdst(0)
	v_add_co_ci_u32_e64 v41, null, v55, v41, s16
	.loc	1 74 25                         ; persistent_matmul.py:74:25
	global_store_b16 v[40:41], v42, off
	s_or_b32 exec_lo, exec_lo, s24
	.loc	1 69 43                         ; persistent_matmul.py:69:43
	s_and_b32 s16, s15, s3
	.loc	1 74 25                         ; persistent_matmul.py:74:25
	s_wait_alu depctr_sa_sdst(0)
	s_and_saveexec_b32 s24, s16
	s_cbranch_execz .LBB0_434
.LBB0_619:
	.loc	1 68 56                         ; persistent_matmul.py:68:56
	v_lshlrev_b64_e32 v[40:41], 1, v[58:59]
	.loc	1 73 31                         ; persistent_matmul.py:73:31
	v_cvt_f16_f32_e32 v42, v44
	s_delay_alu instid0(VALU_DEP_2) | instskip(SKIP_1) | instid1(VALU_DEP_3)
	.loc	1 68 56                         ; persistent_matmul.py:68:56
	v_add_co_u32 v40, s16, v54, v40
	s_wait_alu depctr_va_sdst(0)
	v_add_co_ci_u32_e64 v41, null, v55, v41, s16
	.loc	1 74 25                         ; persistent_matmul.py:74:25
	global_store_b16 v[40:41], v42, off
	s_or_b32 exec_lo, exec_lo, s24
	.loc	1 69 43                         ; persistent_matmul.py:69:43
	s_and_b32 s16, s15, s4
	.loc	1 74 25                         ; persistent_matmul.py:74:25
	s_wait_alu depctr_sa_sdst(0)
	s_and_saveexec_b32 s24, s16
	s_cbranch_execz .LBB0_435
.LBB0_620:
	.loc	1 68 56                         ; persistent_matmul.py:68:56
	v_lshlrev_b64_e32 v[40:41], 1, v[70:71]
	.loc	1 73 31                         ; persistent_matmul.py:73:31
	v_cvt_f16_f32_e32 v42, v45
	s_delay_alu instid0(VALU_DEP_2) | instskip(SKIP_1) | instid1(VALU_DEP_3)
	.loc	1 68 56                         ; persistent_matmul.py:68:56
	v_add_co_u32 v40, s16, v54, v40
	s_wait_alu depctr_va_sdst(0)
	v_add_co_ci_u32_e64 v41, null, v55, v41, s16
	.loc	1 74 25                         ; persistent_matmul.py:74:25
	global_store_b16 v[40:41], v42, off
	s_or_b32 exec_lo, exec_lo, s24
	.loc	1 69 43                         ; persistent_matmul.py:69:43
	s_and_b32 s16, s15, s5
	.loc	1 74 25                         ; persistent_matmul.py:74:25
	s_wait_alu depctr_sa_sdst(0)
	s_and_saveexec_b32 s24, s16
	s_cbranch_execz .LBB0_436
.LBB0_621:
	.loc	1 68 56                         ; persistent_matmul.py:68:56
	v_lshlrev_b64_e32 v[40:41], 1, v[60:61]
	.loc	1 73 31                         ; persistent_matmul.py:73:31
	v_cvt_f16_f32_e32 v42, v46
	s_delay_alu instid0(VALU_DEP_2) | instskip(SKIP_1) | instid1(VALU_DEP_3)
	.loc	1 68 56                         ; persistent_matmul.py:68:56
	v_add_co_u32 v40, s16, v54, v40
	s_wait_alu depctr_va_sdst(0)
	v_add_co_ci_u32_e64 v41, null, v55, v41, s16
	.loc	1 74 25                         ; persistent_matmul.py:74:25
	global_store_b16 v[40:41], v42, off
	s_or_b32 exec_lo, exec_lo, s24
	.loc	1 69 43                         ; persistent_matmul.py:69:43
	s_and_b32 s16, s15, s6
	.loc	1 74 25                         ; persistent_matmul.py:74:25
	s_wait_alu depctr_sa_sdst(0)
	s_and_saveexec_b32 s24, s16
	s_cbranch_execz .LBB0_437
.LBB0_622:
	.loc	1 68 56                         ; persistent_matmul.py:68:56
	v_lshlrev_b64_e32 v[40:41], 1, v[72:73]
	.loc	1 73 31                         ; persistent_matmul.py:73:31
	v_cvt_f16_f32_e32 v42, v47
	s_delay_alu instid0(VALU_DEP_2) | instskip(SKIP_1) | instid1(VALU_DEP_3)
	.loc	1 68 56                         ; persistent_matmul.py:68:56
	v_add_co_u32 v40, s16, v54, v40
	s_wait_alu depctr_va_sdst(0)
	v_add_co_ci_u32_e64 v41, null, v55, v41, s16
	.loc	1 74 25                         ; persistent_matmul.py:74:25
	global_store_b16 v[40:41], v42, off
	s_or_b32 exec_lo, exec_lo, s24
	.loc	1 69 43                         ; persistent_matmul.py:69:43
	s_and_b32 s16, s15, s7
	.loc	1 74 25                         ; persistent_matmul.py:74:25
	s_wait_alu depctr_sa_sdst(0)
	s_and_saveexec_b32 s24, s16
	s_cbranch_execz .LBB0_438
.LBB0_623:
	.loc	1 68 56                         ; persistent_matmul.py:68:56
	v_lshlrev_b64_e32 v[40:41], 1, v[62:63]
	.loc	1 73 31                         ; persistent_matmul.py:73:31
	v_cvt_f16_f32_e32 v32, v32
	s_delay_alu instid0(VALU_DEP_2) | instskip(SKIP_1) | instid1(VALU_DEP_3)
	.loc	1 68 56                         ; persistent_matmul.py:68:56
	v_add_co_u32 v40, s16, v54, v40
	s_wait_alu depctr_va_sdst(0)
	v_add_co_ci_u32_e64 v41, null, v55, v41, s16
	.loc	1 74 25                         ; persistent_matmul.py:74:25
	global_store_b16 v[40:41], v32, off
	s_or_b32 exec_lo, exec_lo, s24
	.loc	1 69 43                         ; persistent_matmul.py:69:43
	s_and_b32 s16, s15, s8
	.loc	1 74 25                         ; persistent_matmul.py:74:25
	s_wait_alu depctr_sa_sdst(0)
	s_and_saveexec_b32 s24, s16
	s_cbranch_execz .LBB0_439
.LBB0_624:
	.loc	1 68 56                         ; persistent_matmul.py:68:56
	v_lshlrev_b64_e32 v[40:41], 1, v[74:75]
	.loc	1 73 31                         ; persistent_matmul.py:73:31
	v_cvt_f16_f32_e32 v32, v33
	s_delay_alu instid0(VALU_DEP_2) | instskip(SKIP_1) | instid1(VALU_DEP_3)
	.loc	1 68 56                         ; persistent_matmul.py:68:56
	v_add_co_u32 v40, s16, v54, v40
	s_wait_alu depctr_va_sdst(0)
	v_add_co_ci_u32_e64 v41, null, v55, v41, s16
	.loc	1 74 25                         ; persistent_matmul.py:74:25
	global_store_b16 v[40:41], v32, off
	s_or_b32 exec_lo, exec_lo, s24
	.loc	1 69 43                         ; persistent_matmul.py:69:43
	s_and_b32 s16, s15, s9
	.loc	1 74 25                         ; persistent_matmul.py:74:25
	s_wait_alu depctr_sa_sdst(0)
	s_and_saveexec_b32 s24, s16
	s_cbranch_execz .LBB0_440
.LBB0_625:
	.loc	1 68 56                         ; persistent_matmul.py:68:56
	v_lshlrev_b64_e32 v[32:33], 1, v[48:49]
	.loc	1 73 31                         ; persistent_matmul.py:73:31
	v_cvt_f16_f32_e32 v34, v34
	s_delay_alu instid0(VALU_DEP_2) | instskip(SKIP_1) | instid1(VALU_DEP_3)
	.loc	1 68 56                         ; persistent_matmul.py:68:56
	v_add_co_u32 v32, s16, v54, v32
	s_wait_alu depctr_va_sdst(0)
	v_add_co_ci_u32_e64 v33, null, v55, v33, s16
	.loc	1 74 25                         ; persistent_matmul.py:74:25
	global_store_b16 v[32:33], v34, off
	s_or_b32 exec_lo, exec_lo, s24
	.loc	1 69 43                         ; persistent_matmul.py:69:43
	s_and_b32 s16, s15, s10
	.loc	1 74 25                         ; persistent_matmul.py:74:25
	s_wait_alu depctr_sa_sdst(0)
	s_and_saveexec_b32 s24, s16
	s_cbranch_execz .LBB0_441
.LBB0_626:
	.loc	1 68 56                         ; persistent_matmul.py:68:56
	v_lshlrev_b64_e32 v[32:33], 1, v[76:77]
	.loc	1 73 31                         ; persistent_matmul.py:73:31
	v_cvt_f16_f32_e32 v34, v35
	s_delay_alu instid0(VALU_DEP_2) | instskip(SKIP_1) | instid1(VALU_DEP_3)
	.loc	1 68 56                         ; persistent_matmul.py:68:56
	v_add_co_u32 v32, s16, v54, v32
	s_wait_alu depctr_va_sdst(0)
	v_add_co_ci_u32_e64 v33, null, v55, v33, s16
	.loc	1 74 25                         ; persistent_matmul.py:74:25
	global_store_b16 v[32:33], v34, off
	s_or_b32 exec_lo, exec_lo, s24
	.loc	1 69 43                         ; persistent_matmul.py:69:43
	s_and_b32 s16, s15, s11
	.loc	1 74 25                         ; persistent_matmul.py:74:25
	s_wait_alu depctr_sa_sdst(0)
	s_and_saveexec_b32 s24, s16
	s_cbranch_execz .LBB0_442
.LBB0_627:
	.loc	1 68 56                         ; persistent_matmul.py:68:56
	v_lshlrev_b64_e32 v[32:33], 1, v[50:51]
	.loc	1 73 31                         ; persistent_matmul.py:73:31
	v_cvt_f16_f32_e32 v34, v36
	s_delay_alu instid0(VALU_DEP_2) | instskip(SKIP_1) | instid1(VALU_DEP_3)
	.loc	1 68 56                         ; persistent_matmul.py:68:56
	v_add_co_u32 v32, s16, v54, v32
	s_wait_alu depctr_va_sdst(0)
	v_add_co_ci_u32_e64 v33, null, v55, v33, s16
	.loc	1 74 25                         ; persistent_matmul.py:74:25
	global_store_b16 v[32:33], v34, off
	s_or_b32 exec_lo, exec_lo, s24
	.loc	1 69 43                         ; persistent_matmul.py:69:43
	s_and_b32 s16, s15, s12
	.loc	1 74 25                         ; persistent_matmul.py:74:25
	s_wait_alu depctr_sa_sdst(0)
	s_and_saveexec_b32 s24, s16
	s_cbranch_execz .LBB0_443
.LBB0_628:
	.loc	1 68 56                         ; persistent_matmul.py:68:56
	v_lshlrev_b64_e32 v[32:33], 1, v[78:79]
	.loc	1 73 31                         ; persistent_matmul.py:73:31
	v_cvt_f16_f32_e32 v34, v37
	s_delay_alu instid0(VALU_DEP_2) | instskip(SKIP_1) | instid1(VALU_DEP_3)
	.loc	1 68 56                         ; persistent_matmul.py:68:56
	v_add_co_u32 v32, s16, v54, v32
	s_wait_alu depctr_va_sdst(0)
	v_add_co_ci_u32_e64 v33, null, v55, v33, s16
	.loc	1 74 25                         ; persistent_matmul.py:74:25
	global_store_b16 v[32:33], v34, off
	s_or_b32 exec_lo, exec_lo, s24
	.loc	1 69 43                         ; persistent_matmul.py:69:43
	s_and_b32 s16, s15, s13
	.loc	1 74 25                         ; persistent_matmul.py:74:25
	s_wait_alu depctr_sa_sdst(0)
	s_and_saveexec_b32 s24, s16
	s_cbranch_execz .LBB0_444
.LBB0_629:
	.loc	1 68 56                         ; persistent_matmul.py:68:56
	v_lshlrev_b64_e32 v[32:33], 1, v[52:53]
	.loc	1 73 31                         ; persistent_matmul.py:73:31
	v_cvt_f16_f32_e32 v34, v38
	s_delay_alu instid0(VALU_DEP_2) | instskip(SKIP_1) | instid1(VALU_DEP_3)
	.loc	1 68 56                         ; persistent_matmul.py:68:56
	v_add_co_u32 v32, s16, v54, v32
	s_wait_alu depctr_va_sdst(0)
	v_add_co_ci_u32_e64 v33, null, v55, v33, s16
	.loc	1 74 25                         ; persistent_matmul.py:74:25
	global_store_b16 v[32:33], v34, off
	s_or_b32 exec_lo, exec_lo, s24
	.loc	1 69 43                         ; persistent_matmul.py:69:43
	s_and_b32 s15, s15, s14
	.loc	1 74 25                         ; persistent_matmul.py:74:25
	s_wait_alu depctr_sa_sdst(0)
	s_and_saveexec_b32 s16, s15
	s_cbranch_execnz .LBB0_445
	s_branch .LBB0_446
.LBB0_630:
	.loc	1 68 56                         ; persistent_matmul.py:68:56
	v_lshlrev_b64_e32 v[34:35], 1, v[64:65]
	.loc	1 73 31                         ; persistent_matmul.py:73:31
	v_cvt_f16_f32_e32 v24, v24
	s_delay_alu instid0(VALU_DEP_2) | instskip(SKIP_1) | instid1(VALU_DEP_3)
	.loc	1 68 56                         ; persistent_matmul.py:68:56
	v_add_co_u32 v34, s16, v32, v34
	s_wait_alu depctr_va_sdst(0)
	v_add_co_ci_u32_e64 v35, null, v33, v35, s16
	.loc	1 74 25                         ; persistent_matmul.py:74:25
	global_store_b16 v[34:35], v24, off
	s_or_b32 exec_lo, exec_lo, s24
	.loc	1 69 43                         ; persistent_matmul.py:69:43
	s_and_b32 s16, s15, s0
	.loc	1 74 25                         ; persistent_matmul.py:74:25
	s_wait_alu depctr_sa_sdst(0)
	s_and_saveexec_b32 s24, s16
	s_cbranch_execz .LBB0_448
.LBB0_631:
	.loc	1 68 56                         ; persistent_matmul.py:68:56
	v_lshlrev_b64_e32 v[34:35], 1, v[66:67]
	.loc	1 73 31                         ; persistent_matmul.py:73:31
	v_cvt_f16_f32_e32 v24, v25
	s_delay_alu instid0(VALU_DEP_2) | instskip(SKIP_1) | instid1(VALU_DEP_3)
	.loc	1 68 56                         ; persistent_matmul.py:68:56
	v_add_co_u32 v34, s16, v32, v34
	s_wait_alu depctr_va_sdst(0)
	v_add_co_ci_u32_e64 v35, null, v33, v35, s16
	.loc	1 74 25                         ; persistent_matmul.py:74:25
	global_store_b16 v[34:35], v24, off
	s_or_b32 exec_lo, exec_lo, s24
	.loc	1 69 43                         ; persistent_matmul.py:69:43
	s_and_b32 s16, s15, s1
	.loc	1 74 25                         ; persistent_matmul.py:74:25
	s_wait_alu depctr_sa_sdst(0)
	s_and_saveexec_b32 s24, s16
	s_cbranch_execz .LBB0_449
.LBB0_632:
	.loc	1 68 56                         ; persistent_matmul.py:68:56
	v_lshlrev_b64_e32 v[24:25], 1, v[56:57]
	.loc	1 73 31                         ; persistent_matmul.py:73:31
	v_cvt_f16_f32_e32 v26, v26
	s_delay_alu instid0(VALU_DEP_2) | instskip(SKIP_1) | instid1(VALU_DEP_3)
	.loc	1 68 56                         ; persistent_matmul.py:68:56
	v_add_co_u32 v24, s16, v32, v24
	s_wait_alu depctr_va_sdst(0)
	v_add_co_ci_u32_e64 v25, null, v33, v25, s16
	.loc	1 74 25                         ; persistent_matmul.py:74:25
	global_store_b16 v[24:25], v26, off
	s_or_b32 exec_lo, exec_lo, s24
	.loc	1 69 43                         ; persistent_matmul.py:69:43
	s_and_b32 s16, s15, s2
	.loc	1 74 25                         ; persistent_matmul.py:74:25
	s_wait_alu depctr_sa_sdst(0)
	s_and_saveexec_b32 s24, s16
	s_cbranch_execz .LBB0_450
.LBB0_633:
	.loc	1 68 56                         ; persistent_matmul.py:68:56
	v_lshlrev_b64_e32 v[24:25], 1, v[68:69]
	.loc	1 73 31                         ; persistent_matmul.py:73:31
	v_cvt_f16_f32_e32 v26, v27
	s_delay_alu instid0(VALU_DEP_2) | instskip(SKIP_1) | instid1(VALU_DEP_3)
	.loc	1 68 56                         ; persistent_matmul.py:68:56
	v_add_co_u32 v24, s16, v32, v24
	s_wait_alu depctr_va_sdst(0)
	v_add_co_ci_u32_e64 v25, null, v33, v25, s16
	.loc	1 74 25                         ; persistent_matmul.py:74:25
	global_store_b16 v[24:25], v26, off
	s_or_b32 exec_lo, exec_lo, s24
	.loc	1 69 43                         ; persistent_matmul.py:69:43
	s_and_b32 s16, s15, s3
	.loc	1 74 25                         ; persistent_matmul.py:74:25
	s_wait_alu depctr_sa_sdst(0)
	s_and_saveexec_b32 s24, s16
	s_cbranch_execz .LBB0_451
.LBB0_634:
	.loc	1 68 56                         ; persistent_matmul.py:68:56
	v_lshlrev_b64_e32 v[24:25], 1, v[58:59]
	.loc	1 73 31                         ; persistent_matmul.py:73:31
	v_cvt_f16_f32_e32 v26, v28
	s_delay_alu instid0(VALU_DEP_2) | instskip(SKIP_1) | instid1(VALU_DEP_3)
	.loc	1 68 56                         ; persistent_matmul.py:68:56
	v_add_co_u32 v24, s16, v32, v24
	s_wait_alu depctr_va_sdst(0)
	v_add_co_ci_u32_e64 v25, null, v33, v25, s16
	.loc	1 74 25                         ; persistent_matmul.py:74:25
	global_store_b16 v[24:25], v26, off
	s_or_b32 exec_lo, exec_lo, s24
	.loc	1 69 43                         ; persistent_matmul.py:69:43
	s_and_b32 s16, s15, s4
	.loc	1 74 25                         ; persistent_matmul.py:74:25
	s_wait_alu depctr_sa_sdst(0)
	s_and_saveexec_b32 s24, s16
	s_cbranch_execz .LBB0_452
.LBB0_635:
	.loc	1 68 56                         ; persistent_matmul.py:68:56
	v_lshlrev_b64_e32 v[24:25], 1, v[70:71]
	.loc	1 73 31                         ; persistent_matmul.py:73:31
	v_cvt_f16_f32_e32 v26, v29
	s_delay_alu instid0(VALU_DEP_2) | instskip(SKIP_1) | instid1(VALU_DEP_3)
	.loc	1 68 56                         ; persistent_matmul.py:68:56
	v_add_co_u32 v24, s16, v32, v24
	s_wait_alu depctr_va_sdst(0)
	v_add_co_ci_u32_e64 v25, null, v33, v25, s16
	.loc	1 74 25                         ; persistent_matmul.py:74:25
	global_store_b16 v[24:25], v26, off
	s_or_b32 exec_lo, exec_lo, s24
	.loc	1 69 43                         ; persistent_matmul.py:69:43
	s_and_b32 s16, s15, s5
	.loc	1 74 25                         ; persistent_matmul.py:74:25
	s_wait_alu depctr_sa_sdst(0)
	s_and_saveexec_b32 s24, s16
	s_cbranch_execz .LBB0_453
.LBB0_636:
	.loc	1 68 56                         ; persistent_matmul.py:68:56
	v_lshlrev_b64_e32 v[24:25], 1, v[60:61]
	.loc	1 73 31                         ; persistent_matmul.py:73:31
	v_cvt_f16_f32_e32 v26, v30
	s_delay_alu instid0(VALU_DEP_2) | instskip(SKIP_1) | instid1(VALU_DEP_3)
	.loc	1 68 56                         ; persistent_matmul.py:68:56
	v_add_co_u32 v24, s16, v32, v24
	s_wait_alu depctr_va_sdst(0)
	v_add_co_ci_u32_e64 v25, null, v33, v25, s16
	.loc	1 74 25                         ; persistent_matmul.py:74:25
	global_store_b16 v[24:25], v26, off
	s_or_b32 exec_lo, exec_lo, s24
	.loc	1 69 43                         ; persistent_matmul.py:69:43
	s_and_b32 s16, s15, s6
	.loc	1 74 25                         ; persistent_matmul.py:74:25
	s_wait_alu depctr_sa_sdst(0)
	s_and_saveexec_b32 s24, s16
	s_cbranch_execz .LBB0_454
.LBB0_637:
	.loc	1 68 56                         ; persistent_matmul.py:68:56
	v_lshlrev_b64_e32 v[24:25], 1, v[72:73]
	.loc	1 73 31                         ; persistent_matmul.py:73:31
	v_cvt_f16_f32_e32 v26, v31
	s_delay_alu instid0(VALU_DEP_2) | instskip(SKIP_1) | instid1(VALU_DEP_3)
	.loc	1 68 56                         ; persistent_matmul.py:68:56
	v_add_co_u32 v24, s16, v32, v24
	s_wait_alu depctr_va_sdst(0)
	v_add_co_ci_u32_e64 v25, null, v33, v25, s16
	.loc	1 74 25                         ; persistent_matmul.py:74:25
	global_store_b16 v[24:25], v26, off
	s_or_b32 exec_lo, exec_lo, s24
	.loc	1 69 43                         ; persistent_matmul.py:69:43
	s_and_b32 s16, s15, s7
	.loc	1 74 25                         ; persistent_matmul.py:74:25
	s_wait_alu depctr_sa_sdst(0)
	s_and_saveexec_b32 s24, s16
	s_cbranch_execz .LBB0_455
.LBB0_638:
	.loc	1 68 56                         ; persistent_matmul.py:68:56
	v_lshlrev_b64_e32 v[24:25], 1, v[62:63]
	.loc	1 73 31                         ; persistent_matmul.py:73:31
	v_cvt_f16_f32_e32 v16, v16
	s_delay_alu instid0(VALU_DEP_2) | instskip(SKIP_1) | instid1(VALU_DEP_3)
	.loc	1 68 56                         ; persistent_matmul.py:68:56
	v_add_co_u32 v24, s16, v32, v24
	s_wait_alu depctr_va_sdst(0)
	v_add_co_ci_u32_e64 v25, null, v33, v25, s16
	.loc	1 74 25                         ; persistent_matmul.py:74:25
	global_store_b16 v[24:25], v16, off
	s_or_b32 exec_lo, exec_lo, s24
	.loc	1 69 43                         ; persistent_matmul.py:69:43
	s_and_b32 s16, s15, s8
	.loc	1 74 25                         ; persistent_matmul.py:74:25
	s_wait_alu depctr_sa_sdst(0)
	s_and_saveexec_b32 s24, s16
	s_cbranch_execz .LBB0_456
.LBB0_639:
	.loc	1 68 56                         ; persistent_matmul.py:68:56
	v_lshlrev_b64_e32 v[24:25], 1, v[74:75]
	.loc	1 73 31                         ; persistent_matmul.py:73:31
	v_cvt_f16_f32_e32 v16, v17
	s_delay_alu instid0(VALU_DEP_2) | instskip(SKIP_1) | instid1(VALU_DEP_3)
	.loc	1 68 56                         ; persistent_matmul.py:68:56
	v_add_co_u32 v24, s16, v32, v24
	s_wait_alu depctr_va_sdst(0)
	v_add_co_ci_u32_e64 v25, null, v33, v25, s16
	.loc	1 74 25                         ; persistent_matmul.py:74:25
	global_store_b16 v[24:25], v16, off
	s_or_b32 exec_lo, exec_lo, s24
	.loc	1 69 43                         ; persistent_matmul.py:69:43
	s_and_b32 s16, s15, s9
	.loc	1 74 25                         ; persistent_matmul.py:74:25
	s_wait_alu depctr_sa_sdst(0)
	s_and_saveexec_b32 s24, s16
	s_cbranch_execz .LBB0_457
.LBB0_640:
	.loc	1 68 56                         ; persistent_matmul.py:68:56
	v_lshlrev_b64_e32 v[16:17], 1, v[48:49]
	.loc	1 73 31                         ; persistent_matmul.py:73:31
	v_cvt_f16_f32_e32 v18, v18
	s_delay_alu instid0(VALU_DEP_2) | instskip(SKIP_1) | instid1(VALU_DEP_3)
	.loc	1 68 56                         ; persistent_matmul.py:68:56
	v_add_co_u32 v16, s16, v32, v16
	s_wait_alu depctr_va_sdst(0)
	v_add_co_ci_u32_e64 v17, null, v33, v17, s16
	.loc	1 74 25                         ; persistent_matmul.py:74:25
	global_store_b16 v[16:17], v18, off
	s_or_b32 exec_lo, exec_lo, s24
	.loc	1 69 43                         ; persistent_matmul.py:69:43
	s_and_b32 s16, s15, s10
	.loc	1 74 25                         ; persistent_matmul.py:74:25
	s_wait_alu depctr_sa_sdst(0)
	s_and_saveexec_b32 s24, s16
	s_cbranch_execz .LBB0_458
.LBB0_641:
	.loc	1 68 56                         ; persistent_matmul.py:68:56
	v_lshlrev_b64_e32 v[16:17], 1, v[76:77]
	.loc	1 73 31                         ; persistent_matmul.py:73:31
	v_cvt_f16_f32_e32 v18, v19
	s_delay_alu instid0(VALU_DEP_2) | instskip(SKIP_1) | instid1(VALU_DEP_3)
	.loc	1 68 56                         ; persistent_matmul.py:68:56
	v_add_co_u32 v16, s16, v32, v16
	s_wait_alu depctr_va_sdst(0)
	v_add_co_ci_u32_e64 v17, null, v33, v17, s16
	.loc	1 74 25                         ; persistent_matmul.py:74:25
	global_store_b16 v[16:17], v18, off
	s_or_b32 exec_lo, exec_lo, s24
	.loc	1 69 43                         ; persistent_matmul.py:69:43
	s_and_b32 s16, s15, s11
	.loc	1 74 25                         ; persistent_matmul.py:74:25
	s_wait_alu depctr_sa_sdst(0)
	s_and_saveexec_b32 s24, s16
	s_cbranch_execz .LBB0_459
.LBB0_642:
	.loc	1 68 56                         ; persistent_matmul.py:68:56
	v_lshlrev_b64_e32 v[16:17], 1, v[50:51]
	.loc	1 73 31                         ; persistent_matmul.py:73:31
	v_cvt_f16_f32_e32 v18, v20
	s_delay_alu instid0(VALU_DEP_2) | instskip(SKIP_1) | instid1(VALU_DEP_3)
	.loc	1 68 56                         ; persistent_matmul.py:68:56
	v_add_co_u32 v16, s16, v32, v16
	s_wait_alu depctr_va_sdst(0)
	v_add_co_ci_u32_e64 v17, null, v33, v17, s16
	.loc	1 74 25                         ; persistent_matmul.py:74:25
	global_store_b16 v[16:17], v18, off
	s_or_b32 exec_lo, exec_lo, s24
	.loc	1 69 43                         ; persistent_matmul.py:69:43
	s_and_b32 s16, s15, s12
	.loc	1 74 25                         ; persistent_matmul.py:74:25
	s_wait_alu depctr_sa_sdst(0)
	s_and_saveexec_b32 s24, s16
	s_cbranch_execz .LBB0_460
.LBB0_643:
	.loc	1 68 56                         ; persistent_matmul.py:68:56
	v_lshlrev_b64_e32 v[16:17], 1, v[78:79]
	.loc	1 73 31                         ; persistent_matmul.py:73:31
	v_cvt_f16_f32_e32 v18, v21
	s_delay_alu instid0(VALU_DEP_2) | instskip(SKIP_1) | instid1(VALU_DEP_3)
	.loc	1 68 56                         ; persistent_matmul.py:68:56
	v_add_co_u32 v16, s16, v32, v16
	s_wait_alu depctr_va_sdst(0)
	v_add_co_ci_u32_e64 v17, null, v33, v17, s16
	.loc	1 74 25                         ; persistent_matmul.py:74:25
	global_store_b16 v[16:17], v18, off
	s_or_b32 exec_lo, exec_lo, s24
	.loc	1 69 43                         ; persistent_matmul.py:69:43
	s_and_b32 s16, s15, s13
	.loc	1 74 25                         ; persistent_matmul.py:74:25
	s_wait_alu depctr_sa_sdst(0)
	s_and_saveexec_b32 s24, s16
	s_cbranch_execz .LBB0_461
.LBB0_644:
	.loc	1 68 56                         ; persistent_matmul.py:68:56
	v_lshlrev_b64_e32 v[16:17], 1, v[52:53]
	.loc	1 73 31                         ; persistent_matmul.py:73:31
	v_cvt_f16_f32_e32 v18, v22
	s_delay_alu instid0(VALU_DEP_2) | instskip(SKIP_1) | instid1(VALU_DEP_3)
	.loc	1 68 56                         ; persistent_matmul.py:68:56
	v_add_co_u32 v16, s16, v32, v16
	s_wait_alu depctr_va_sdst(0)
	v_add_co_ci_u32_e64 v17, null, v33, v17, s16
	.loc	1 74 25                         ; persistent_matmul.py:74:25
	global_store_b16 v[16:17], v18, off
	s_or_b32 exec_lo, exec_lo, s24
	.loc	1 69 43                         ; persistent_matmul.py:69:43
	s_and_b32 s15, s15, s14
	.loc	1 74 25                         ; persistent_matmul.py:74:25
	s_wait_alu depctr_sa_sdst(0)
	s_and_saveexec_b32 s16, s15
	s_cbranch_execnz .LBB0_462
	s_branch .LBB0_463
.LBB0_645:
	.loc	1 68 56                         ; persistent_matmul.py:68:56
	v_lshlrev_b64_e32 v[18:19], 1, v[64:65]
	.loc	1 73 31                         ; persistent_matmul.py:73:31
	v_cvt_f16_f32_e32 v8, v8
	s_delay_alu instid0(VALU_DEP_2) | instskip(SKIP_1) | instid1(VALU_DEP_3)
	.loc	1 68 56                         ; persistent_matmul.py:68:56
	v_add_co_u32 v18, vcc_lo, v16, v18
	s_wait_alu depctr_va_vcc(0)
	v_add_co_ci_u32_e64 v19, null, v17, v19, vcc_lo
	.loc	1 74 25                         ; persistent_matmul.py:74:25
	global_store_b16 v[18:19], v8, off
	s_wait_alu depctr_sa_sdst(0)
	s_or_b32 exec_lo, exec_lo, s16
	.loc	1 69 43                         ; persistent_matmul.py:69:43
	s_and_b32 s16, s15, s0
	.loc	1 74 25                         ; persistent_matmul.py:74:25
	s_wait_alu depctr_sa_sdst(0)
	s_and_saveexec_b32 s0, s16
	s_cbranch_execz .LBB0_465
.LBB0_646:
	.loc	1 68 56                         ; persistent_matmul.py:68:56
	v_lshlrev_b64_e32 v[18:19], 1, v[66:67]
	.loc	1 73 31                         ; persistent_matmul.py:73:31
	v_cvt_f16_f32_e32 v8, v9
	s_delay_alu instid0(VALU_DEP_2) | instskip(SKIP_1) | instid1(VALU_DEP_3)
	.loc	1 68 56                         ; persistent_matmul.py:68:56
	v_add_co_u32 v18, vcc_lo, v16, v18
	s_wait_alu depctr_va_vcc(0)
	v_add_co_ci_u32_e64 v19, null, v17, v19, vcc_lo
	.loc	1 74 25                         ; persistent_matmul.py:74:25
	global_store_b16 v[18:19], v8, off
	s_wait_alu depctr_sa_sdst(0)
	s_or_b32 exec_lo, exec_lo, s0
	.loc	1 69 43                         ; persistent_matmul.py:69:43
	s_and_b32 s1, s15, s1
	.loc	1 74 25                         ; persistent_matmul.py:74:25
	s_wait_alu depctr_sa_sdst(0)
	s_and_saveexec_b32 s0, s1
	s_cbranch_execz .LBB0_466
.LBB0_647:
	.loc	1 68 56                         ; persistent_matmul.py:68:56
	v_lshlrev_b64_e32 v[8:9], 1, v[56:57]
	.loc	1 73 31                         ; persistent_matmul.py:73:31
	v_cvt_f16_f32_e32 v10, v10
	s_delay_alu instid0(VALU_DEP_2) | instskip(SKIP_1) | instid1(VALU_DEP_3)
	.loc	1 68 56                         ; persistent_matmul.py:68:56
	v_add_co_u32 v8, vcc_lo, v16, v8
	s_wait_alu depctr_va_vcc(0)
	v_add_co_ci_u32_e64 v9, null, v17, v9, vcc_lo
	.loc	1 74 25                         ; persistent_matmul.py:74:25
	global_store_b16 v[8:9], v10, off
	s_wait_alu depctr_sa_sdst(0)
	s_or_b32 exec_lo, exec_lo, s0
	.loc	1 69 43                         ; persistent_matmul.py:69:43
	s_and_b32 s1, s15, s2
	.loc	1 74 25                         ; persistent_matmul.py:74:25
	s_wait_alu depctr_sa_sdst(0)
	s_and_saveexec_b32 s0, s1
	s_cbranch_execz .LBB0_467
.LBB0_648:
	.loc	1 68 56                         ; persistent_matmul.py:68:56
	v_lshlrev_b64_e32 v[8:9], 1, v[68:69]
	.loc	1 73 31                         ; persistent_matmul.py:73:31
	v_cvt_f16_f32_e32 v10, v11
	s_delay_alu instid0(VALU_DEP_2) | instskip(SKIP_1) | instid1(VALU_DEP_3)
	.loc	1 68 56                         ; persistent_matmul.py:68:56
	v_add_co_u32 v8, vcc_lo, v16, v8
	s_wait_alu depctr_va_vcc(0)
	v_add_co_ci_u32_e64 v9, null, v17, v9, vcc_lo
	.loc	1 74 25                         ; persistent_matmul.py:74:25
	global_store_b16 v[8:9], v10, off
	s_wait_alu depctr_sa_sdst(0)
	s_or_b32 exec_lo, exec_lo, s0
	.loc	1 69 43                         ; persistent_matmul.py:69:43
	s_and_b32 s1, s15, s3
	.loc	1 74 25                         ; persistent_matmul.py:74:25
	s_wait_alu depctr_sa_sdst(0)
	s_and_saveexec_b32 s0, s1
	s_cbranch_execz .LBB0_468
.LBB0_649:
	.loc	1 68 56                         ; persistent_matmul.py:68:56
	v_lshlrev_b64_e32 v[8:9], 1, v[58:59]
	.loc	1 73 31                         ; persistent_matmul.py:73:31
	v_cvt_f16_f32_e32 v10, v12
	s_delay_alu instid0(VALU_DEP_2) | instskip(SKIP_1) | instid1(VALU_DEP_3)
	.loc	1 68 56                         ; persistent_matmul.py:68:56
	v_add_co_u32 v8, vcc_lo, v16, v8
	s_wait_alu depctr_va_vcc(0)
	v_add_co_ci_u32_e64 v9, null, v17, v9, vcc_lo
	.loc	1 74 25                         ; persistent_matmul.py:74:25
	global_store_b16 v[8:9], v10, off
	s_wait_alu depctr_sa_sdst(0)
	s_or_b32 exec_lo, exec_lo, s0
	.loc	1 69 43                         ; persistent_matmul.py:69:43
	s_and_b32 s1, s15, s4
	.loc	1 74 25                         ; persistent_matmul.py:74:25
	s_wait_alu depctr_sa_sdst(0)
	s_and_saveexec_b32 s0, s1
	s_cbranch_execz .LBB0_469
.LBB0_650:
	.loc	1 68 56                         ; persistent_matmul.py:68:56
	v_lshlrev_b64_e32 v[8:9], 1, v[70:71]
	.loc	1 73 31                         ; persistent_matmul.py:73:31
	v_cvt_f16_f32_e32 v10, v13
	s_delay_alu instid0(VALU_DEP_2) | instskip(SKIP_1) | instid1(VALU_DEP_3)
	.loc	1 68 56                         ; persistent_matmul.py:68:56
	v_add_co_u32 v8, vcc_lo, v16, v8
	s_wait_alu depctr_va_vcc(0)
	v_add_co_ci_u32_e64 v9, null, v17, v9, vcc_lo
	.loc	1 74 25                         ; persistent_matmul.py:74:25
	global_store_b16 v[8:9], v10, off
	s_wait_alu depctr_sa_sdst(0)
	s_or_b32 exec_lo, exec_lo, s0
	.loc	1 69 43                         ; persistent_matmul.py:69:43
	s_and_b32 s1, s15, s5
	.loc	1 74 25                         ; persistent_matmul.py:74:25
	s_wait_alu depctr_sa_sdst(0)
	s_and_saveexec_b32 s0, s1
	s_cbranch_execz .LBB0_470
.LBB0_651:
	.loc	1 68 56                         ; persistent_matmul.py:68:56
	v_lshlrev_b64_e32 v[8:9], 1, v[60:61]
	.loc	1 73 31                         ; persistent_matmul.py:73:31
	v_cvt_f16_f32_e32 v10, v14
	s_delay_alu instid0(VALU_DEP_2) | instskip(SKIP_1) | instid1(VALU_DEP_3)
	.loc	1 68 56                         ; persistent_matmul.py:68:56
	v_add_co_u32 v8, vcc_lo, v16, v8
	s_wait_alu depctr_va_vcc(0)
	v_add_co_ci_u32_e64 v9, null, v17, v9, vcc_lo
	.loc	1 74 25                         ; persistent_matmul.py:74:25
	global_store_b16 v[8:9], v10, off
	s_wait_alu depctr_sa_sdst(0)
	s_or_b32 exec_lo, exec_lo, s0
	.loc	1 69 43                         ; persistent_matmul.py:69:43
	s_and_b32 s1, s15, s6
	.loc	1 74 25                         ; persistent_matmul.py:74:25
	s_wait_alu depctr_sa_sdst(0)
	s_and_saveexec_b32 s0, s1
	s_cbranch_execz .LBB0_471
.LBB0_652:
	.loc	1 68 56                         ; persistent_matmul.py:68:56
	v_lshlrev_b64_e32 v[8:9], 1, v[72:73]
	.loc	1 73 31                         ; persistent_matmul.py:73:31
	v_cvt_f16_f32_e32 v10, v15
	s_delay_alu instid0(VALU_DEP_2) | instskip(SKIP_1) | instid1(VALU_DEP_3)
	.loc	1 68 56                         ; persistent_matmul.py:68:56
	v_add_co_u32 v8, vcc_lo, v16, v8
	s_wait_alu depctr_va_vcc(0)
	v_add_co_ci_u32_e64 v9, null, v17, v9, vcc_lo
	.loc	1 74 25                         ; persistent_matmul.py:74:25
	global_store_b16 v[8:9], v10, off
	s_wait_alu depctr_sa_sdst(0)
	s_or_b32 exec_lo, exec_lo, s0
	.loc	1 69 43                         ; persistent_matmul.py:69:43
	s_and_b32 s1, s15, s7
	.loc	1 74 25                         ; persistent_matmul.py:74:25
	s_wait_alu depctr_sa_sdst(0)
	s_and_saveexec_b32 s0, s1
	s_cbranch_execz .LBB0_472
.LBB0_653:
	.loc	1 68 56                         ; persistent_matmul.py:68:56
	v_lshlrev_b64_e32 v[8:9], 1, v[62:63]
	.loc	1 73 31                         ; persistent_matmul.py:73:31
	v_cvt_f16_f32_e32 v0, v0
	s_delay_alu instid0(VALU_DEP_2) | instskip(SKIP_1) | instid1(VALU_DEP_3)
	.loc	1 68 56                         ; persistent_matmul.py:68:56
	v_add_co_u32 v8, vcc_lo, v16, v8
	s_wait_alu depctr_va_vcc(0)
	v_add_co_ci_u32_e64 v9, null, v17, v9, vcc_lo
	.loc	1 74 25                         ; persistent_matmul.py:74:25
	global_store_b16 v[8:9], v0, off
	s_wait_alu depctr_sa_sdst(0)
	s_or_b32 exec_lo, exec_lo, s0
	.loc	1 69 43                         ; persistent_matmul.py:69:43
	s_and_b32 s1, s15, s8
	.loc	1 74 25                         ; persistent_matmul.py:74:25
	s_wait_alu depctr_sa_sdst(0)
	s_and_saveexec_b32 s0, s1
	s_cbranch_execz .LBB0_473
.LBB0_654:
	.loc	1 68 56                         ; persistent_matmul.py:68:56
	v_lshlrev_b64_e32 v[8:9], 1, v[74:75]
	.loc	1 73 31                         ; persistent_matmul.py:73:31
	v_cvt_f16_f32_e32 v0, v1
	s_delay_alu instid0(VALU_DEP_2) | instskip(SKIP_1) | instid1(VALU_DEP_3)
	.loc	1 68 56                         ; persistent_matmul.py:68:56
	v_add_co_u32 v8, vcc_lo, v16, v8
	s_wait_alu depctr_va_vcc(0)
	v_add_co_ci_u32_e64 v9, null, v17, v9, vcc_lo
	.loc	1 74 25                         ; persistent_matmul.py:74:25
	global_store_b16 v[8:9], v0, off
	s_wait_alu depctr_sa_sdst(0)
	s_or_b32 exec_lo, exec_lo, s0
	.loc	1 69 43                         ; persistent_matmul.py:69:43
	s_and_b32 s1, s15, s9
	.loc	1 74 25                         ; persistent_matmul.py:74:25
	s_wait_alu depctr_sa_sdst(0)
	s_and_saveexec_b32 s0, s1
	s_cbranch_execz .LBB0_474
.LBB0_655:
	.loc	1 68 56                         ; persistent_matmul.py:68:56
	v_lshlrev_b64_e32 v[0:1], 1, v[48:49]
	.loc	1 73 31                         ; persistent_matmul.py:73:31
	v_cvt_f16_f32_e32 v2, v2
	s_delay_alu instid0(VALU_DEP_2) | instskip(SKIP_1) | instid1(VALU_DEP_3)
	.loc	1 68 56                         ; persistent_matmul.py:68:56
	v_add_co_u32 v0, vcc_lo, v16, v0
	s_wait_alu depctr_va_vcc(0)
	v_add_co_ci_u32_e64 v1, null, v17, v1, vcc_lo
	.loc	1 74 25                         ; persistent_matmul.py:74:25
	global_store_b16 v[0:1], v2, off
	s_wait_alu depctr_sa_sdst(0)
	s_or_b32 exec_lo, exec_lo, s0
	.loc	1 69 43                         ; persistent_matmul.py:69:43
	s_and_b32 s1, s15, s10
	.loc	1 74 25                         ; persistent_matmul.py:74:25
	s_wait_alu depctr_sa_sdst(0)
	s_and_saveexec_b32 s0, s1
	s_cbranch_execz .LBB0_475
.LBB0_656:
	.loc	1 68 56                         ; persistent_matmul.py:68:56
	v_lshlrev_b64_e32 v[0:1], 1, v[76:77]
	.loc	1 73 31                         ; persistent_matmul.py:73:31
	v_cvt_f16_f32_e32 v2, v3
	s_delay_alu instid0(VALU_DEP_2) | instskip(SKIP_1) | instid1(VALU_DEP_3)
	.loc	1 68 56                         ; persistent_matmul.py:68:56
	v_add_co_u32 v0, vcc_lo, v16, v0
	s_wait_alu depctr_va_vcc(0)
	v_add_co_ci_u32_e64 v1, null, v17, v1, vcc_lo
	.loc	1 74 25                         ; persistent_matmul.py:74:25
	global_store_b16 v[0:1], v2, off
	s_wait_alu depctr_sa_sdst(0)
	s_or_b32 exec_lo, exec_lo, s0
	.loc	1 69 43                         ; persistent_matmul.py:69:43
	s_and_b32 s1, s15, s11
	.loc	1 74 25                         ; persistent_matmul.py:74:25
	s_wait_alu depctr_sa_sdst(0)
	s_and_saveexec_b32 s0, s1
	s_cbranch_execz .LBB0_476
.LBB0_657:
	.loc	1 68 56                         ; persistent_matmul.py:68:56
	v_lshlrev_b64_e32 v[0:1], 1, v[50:51]
	.loc	1 73 31                         ; persistent_matmul.py:73:31
	v_cvt_f16_f32_e32 v2, v4
	s_delay_alu instid0(VALU_DEP_2) | instskip(SKIP_1) | instid1(VALU_DEP_3)
	.loc	1 68 56                         ; persistent_matmul.py:68:56
	v_add_co_u32 v0, vcc_lo, v16, v0
	s_wait_alu depctr_va_vcc(0)
	v_add_co_ci_u32_e64 v1, null, v17, v1, vcc_lo
	.loc	1 74 25                         ; persistent_matmul.py:74:25
	global_store_b16 v[0:1], v2, off
	s_wait_alu depctr_sa_sdst(0)
	s_or_b32 exec_lo, exec_lo, s0
	.loc	1 69 43                         ; persistent_matmul.py:69:43
	s_and_b32 s1, s15, s12
	.loc	1 74 25                         ; persistent_matmul.py:74:25
	s_wait_alu depctr_sa_sdst(0)
	s_and_saveexec_b32 s0, s1
	s_cbranch_execz .LBB0_477
.LBB0_658:
	.loc	1 68 56                         ; persistent_matmul.py:68:56
	v_lshlrev_b64_e32 v[0:1], 1, v[78:79]
	.loc	1 73 31                         ; persistent_matmul.py:73:31
	v_cvt_f16_f32_e32 v2, v5
	s_delay_alu instid0(VALU_DEP_2) | instskip(SKIP_1) | instid1(VALU_DEP_3)
	.loc	1 68 56                         ; persistent_matmul.py:68:56
	v_add_co_u32 v0, vcc_lo, v16, v0
	s_wait_alu depctr_va_vcc(0)
	v_add_co_ci_u32_e64 v1, null, v17, v1, vcc_lo
	.loc	1 74 25                         ; persistent_matmul.py:74:25
	global_store_b16 v[0:1], v2, off
	s_wait_alu depctr_sa_sdst(0)
	s_or_b32 exec_lo, exec_lo, s0
	.loc	1 69 43                         ; persistent_matmul.py:69:43
	s_and_b32 s1, s15, s13
	.loc	1 74 25                         ; persistent_matmul.py:74:25
	s_wait_alu depctr_sa_sdst(0)
	s_and_saveexec_b32 s0, s1
	s_cbranch_execz .LBB0_478
.LBB0_659:
	.loc	1 68 56                         ; persistent_matmul.py:68:56
	v_lshlrev_b64_e32 v[0:1], 1, v[52:53]
	.loc	1 73 31                         ; persistent_matmul.py:73:31
	v_cvt_f16_f32_e32 v2, v6
	s_delay_alu instid0(VALU_DEP_2) | instskip(SKIP_1) | instid1(VALU_DEP_3)
	.loc	1 68 56                         ; persistent_matmul.py:68:56
	v_add_co_u32 v0, vcc_lo, v16, v0
	s_wait_alu depctr_va_vcc(0)
	v_add_co_ci_u32_e64 v1, null, v17, v1, vcc_lo
	.loc	1 74 25                         ; persistent_matmul.py:74:25
	global_store_b16 v[0:1], v2, off
	s_wait_alu depctr_sa_sdst(0)
	s_or_b32 exec_lo, exec_lo, s0
	.loc	1 69 43                         ; persistent_matmul.py:69:43
	s_and_b32 s1, s15, s14
	.loc	1 74 25                         ; persistent_matmul.py:74:25
	s_wait_alu depctr_sa_sdst(0)
	s_and_saveexec_b32 s0, s1
	s_cbranch_execnz .LBB0_479
	s_branch .LBB0_480
.Ltmp97:
	.section	.rodata,"a",@progbits
	.p2align	6, 0x0
	.amdhsa_kernel matmul_kernel_persistent
		.amdhsa_group_segment_fixed_size 0
		.amdhsa_private_segment_fixed_size 0
		.amdhsa_kernarg_size 80
		.amdhsa_user_sgpr_count 2
		.amdhsa_user_sgpr_dispatch_ptr 0
		.amdhsa_user_sgpr_queue_ptr 0
		.amdhsa_user_sgpr_kernarg_segment_ptr 1
		.amdhsa_user_sgpr_dispatch_id 0
		.amdhsa_user_sgpr_private_segment_size 0
		.amdhsa_wavefront_size32 1
		.amdhsa_uses_dynamic_stack 0
		.amdhsa_enable_private_segment 0
		.amdhsa_system_sgpr_workgroup_id_x 1
		.amdhsa_system_sgpr_workgroup_id_y 1
		.amdhsa_system_sgpr_workgroup_id_z 1
		.amdhsa_system_sgpr_workgroup_info 0
		.amdhsa_system_vgpr_workitem_id 0
		.amdhsa_next_free_vgpr 242
		.amdhsa_next_free_sgpr 105
		.amdhsa_reserve_vcc 1
		.amdhsa_float_round_mode_32 0
		.amdhsa_float_round_mode_16_64 0
		.amdhsa_float_denorm_mode_32 3
		.amdhsa_float_denorm_mode_16_64 3
		.amdhsa_fp16_overflow 0
		.amdhsa_workgroup_processor_mode 1
		.amdhsa_memory_ordered 1
		.amdhsa_forward_progress 1
		.amdhsa_inst_pref_size 255
		.amdhsa_round_robin_scheduling 0
		.amdhsa_exception_fp_ieee_invalid_op 0
		.amdhsa_exception_fp_denorm_src 0
		.amdhsa_exception_fp_ieee_div_zero 0
		.amdhsa_exception_fp_ieee_overflow 0
		.amdhsa_exception_fp_ieee_underflow 0
		.amdhsa_exception_fp_ieee_inexact 0
		.amdhsa_exception_int_div_zero 0
	.end_amdhsa_kernel
	.text
.Lfunc_end0:
	.size	matmul_kernel_persistent, .Lfunc_end0-matmul_kernel_persistent
	.cfi_endproc
                                        ; -- End function
	.set matmul_kernel_persistent.num_vgpr, 242
	.set matmul_kernel_persistent.num_agpr, 0
	.set matmul_kernel_persistent.numbered_sgpr, 105
	.set matmul_kernel_persistent.num_named_barrier, 0
	.set matmul_kernel_persistent.private_seg_size, 0
	.set matmul_kernel_persistent.uses_vcc, 1
	.set matmul_kernel_persistent.uses_flat_scratch, 0
	.set matmul_kernel_persistent.has_dyn_sized_stack, 0
	.set matmul_kernel_persistent.has_recursion, 0
	.set matmul_kernel_persistent.has_indirect_call, 0
	.section	.AMDGPU.csdata,"",@progbits
; Kernel info:
; codeLenInByte = 38372
; TotalNumSgprs: 107
; NumVgprs: 242
; ScratchSize: 0
; MemoryBound: 0
; FloatMode: 240
; IeeeMode: 1
; LDSByteSize: 0 bytes/workgroup (compile time only)
; SGPRBlocks: 0
; VGPRBlocks: 30
; NumSGPRsForWavesPerEU: 107
; NumVGPRsForWavesPerEU: 242
; Occupancy: 5
; WaveLimiterHint : 0
; COMPUTE_PGM_RSRC2:SCRATCH_EN: 0
; COMPUTE_PGM_RSRC2:USER_SGPR: 2
; COMPUTE_PGM_RSRC2:TRAP_HANDLER: 0
; COMPUTE_PGM_RSRC2:TGID_X_EN: 1
; COMPUTE_PGM_RSRC2:TGID_Y_EN: 1
; COMPUTE_PGM_RSRC2:TGID_Z_EN: 1
; COMPUTE_PGM_RSRC2:TIDIG_COMP_CNT: 0
	.text
	.p2alignl 7, 3214868480
	.fill 96, 4, 3214868480
	.section	.AMDGPU.gpr_maximums,"",@progbits
	.set amdgpu.max_num_vgpr, 0
	.set amdgpu.max_num_agpr, 0
	.set amdgpu.max_num_sgpr, 0
	.set amdgpu.max_num_named_barrier, 0
	.text
	.section	.debug_abbrev,"",@progbits
	.byte	1                               ; Abbreviation Code
	.byte	17                              ; DW_TAG_compile_unit
	.byte	1                               ; DW_CHILDREN_yes
	.byte	37                              ; DW_AT_producer
	.byte	14                              ; DW_FORM_strp
	.byte	19                              ; DW_AT_language
	.byte	5                               ; DW_FORM_data2
	.byte	3                               ; DW_AT_name
	.byte	14                              ; DW_FORM_strp
	.byte	16                              ; DW_AT_stmt_list
	.byte	23                              ; DW_FORM_sec_offset
	.byte	27                              ; DW_AT_comp_dir
	.byte	14                              ; DW_FORM_strp
	.byte	17                              ; DW_AT_low_pc
	.byte	1                               ; DW_FORM_addr
	.byte	18                              ; DW_AT_high_pc
	.byte	6                               ; DW_FORM_data4
	.byte	0                               ; EOM(1)
	.byte	0                               ; EOM(2)
	.byte	2                               ; Abbreviation Code
	.byte	46                              ; DW_TAG_subprogram
	.byte	0                               ; DW_CHILDREN_no
	.byte	3                               ; DW_AT_name
	.byte	14                              ; DW_FORM_strp
	.byte	32                              ; DW_AT_inline
	.byte	11                              ; DW_FORM_data1
	.byte	0                               ; EOM(1)
	.byte	0                               ; EOM(2)
	.byte	3                               ; Abbreviation Code
	.byte	46                              ; DW_TAG_subprogram
	.byte	1                               ; DW_CHILDREN_yes
	.byte	17                              ; DW_AT_low_pc
	.byte	1                               ; DW_FORM_addr
	.byte	18                              ; DW_AT_high_pc
	.byte	6                               ; DW_FORM_data4
	.byte	49                              ; DW_AT_abstract_origin
	.byte	19                              ; DW_FORM_ref4
	.byte	0                               ; EOM(1)
	.byte	0                               ; EOM(2)
	.byte	4                               ; Abbreviation Code
	.byte	29                              ; DW_TAG_inlined_subroutine
	.byte	0                               ; DW_CHILDREN_no
	.byte	49                              ; DW_AT_abstract_origin
	.byte	19                              ; DW_FORM_ref4
	.byte	85                              ; DW_AT_ranges
	.byte	23                              ; DW_FORM_sec_offset
	.byte	88                              ; DW_AT_call_file
	.byte	11                              ; DW_FORM_data1
	.byte	89                              ; DW_AT_call_line
	.byte	11                              ; DW_FORM_data1
	.byte	87                              ; DW_AT_call_column
	.byte	11                              ; DW_FORM_data1
	.byte	0                               ; EOM(1)
	.byte	0                               ; EOM(2)
	;; [unrolled: 1-line block ×3, first 2 shown]
	.section	.debug_info,"",@progbits
.Lcu_begin0:
	.long	.Ldebug_info_end0-.Ldebug_info_start0 ; Length of Unit
.Ldebug_info_start0:
	.short	4                               ; DWARF version number
	.long	.debug_abbrev                   ; Offset Into Abbrev. Section
	.byte	8                               ; Address Size (in bytes)
	.byte	1                               ; Abbrev [1] 0xb:0x74 DW_TAG_compile_unit
	.long	.Linfo_string0                  ; DW_AT_producer
	.short	2                               ; DW_AT_language
	.long	.Linfo_string1                  ; DW_AT_name
	.long	.Lline_table_start0             ; DW_AT_stmt_list
	.long	.Linfo_string2                  ; DW_AT_comp_dir
	.quad	.Lfunc_begin0                   ; DW_AT_low_pc
	.long	.Lfunc_end0-.Lfunc_begin0       ; DW_AT_high_pc
	.byte	2                               ; Abbrev [2] 0x2a:0x6 DW_TAG_subprogram
	.long	.Linfo_string3                  ; DW_AT_name
	.byte	1                               ; DW_AT_inline
	.byte	3                               ; Abbrev [3] 0x30:0x4e DW_TAG_subprogram
	.quad	.Lfunc_begin0                   ; DW_AT_low_pc
	.long	.Lfunc_end0-.Lfunc_begin0       ; DW_AT_high_pc
	.long	42                              ; DW_AT_abstract_origin
	.byte	4                               ; Abbrev [4] 0x41:0xc DW_TAG_inlined_subroutine
	.long	42                              ; DW_AT_abstract_origin
	.long	.Ldebug_ranges0                 ; DW_AT_ranges
	.byte	1                               ; DW_AT_call_file
	.byte	31                              ; DW_AT_call_line
	.byte	27                              ; DW_AT_call_column
	.byte	4                               ; Abbrev [4] 0x4d:0xc DW_TAG_inlined_subroutine
	.long	42                              ; DW_AT_abstract_origin
	.long	.Ldebug_ranges1                 ; DW_AT_ranges
	.byte	1                               ; DW_AT_call_file
	.byte	32                              ; DW_AT_call_line
	.byte	27                              ; DW_AT_call_column
	;; [unrolled: 6-line block ×5, first 2 shown]
	.byte	0                               ; End Of Children Mark
	.byte	0                               ; End Of Children Mark
.Ldebug_info_end0:
	.section	.debug_ranges,"",@progbits
.Ldebug_ranges0:
	.quad	.Ltmp1-.Lfunc_begin0
	.quad	.Ltmp2-.Lfunc_begin0
	;; [unrolled: 1-line block ×10, first 2 shown]
	.quad	0
	.quad	0
.Ldebug_ranges1:
	.quad	.Ltmp2-.Lfunc_begin0
	.quad	.Ltmp3-.Lfunc_begin0
	.quad	.Ltmp4-.Lfunc_begin0
	.quad	.Ltmp5-.Lfunc_begin0
	.quad	.Ltmp6-.Lfunc_begin0
	.quad	.Ltmp7-.Lfunc_begin0
	.quad	.Ltmp8-.Lfunc_begin0
	.quad	.Ltmp9-.Lfunc_begin0
	.quad	.Ltmp11-.Lfunc_begin0
	.quad	.Ltmp12-.Lfunc_begin0
	.quad	0
	.quad	0
.Ldebug_ranges2:
	.quad	.Ltmp13-.Lfunc_begin0
	.quad	.Ltmp14-.Lfunc_begin0
	.quad	.Ltmp15-.Lfunc_begin0
	.quad	.Ltmp16-.Lfunc_begin0
	.quad	.Ltmp17-.Lfunc_begin0
	.quad	.Ltmp18-.Lfunc_begin0
	.quad	.Ltmp19-.Lfunc_begin0
	.quad	.Ltmp20-.Lfunc_begin0
	.quad	.Ltmp21-.Lfunc_begin0
	.quad	.Ltmp22-.Lfunc_begin0
	.quad	0
	.quad	0
.Ldebug_ranges3:
	.quad	.Ltmp23-.Lfunc_begin0
	.quad	.Ltmp24-.Lfunc_begin0
	;; [unrolled: 1-line block ×52, first 2 shown]
	.quad	0
	.quad	0
.Ldebug_ranges4:
	.quad	.Ltmp75-.Lfunc_begin0
	.quad	.Ltmp76-.Lfunc_begin0
	;; [unrolled: 1-line block ×22, first 2 shown]
	.quad	0
	.quad	0
	.section	.debug_str,"MS",@progbits,1
.Linfo_string0:
	.asciz	"triton"                        ; string offset=0
.Linfo_string1:
	.asciz	"persistent_matmul.py"          ; string offset=7
.Linfo_string2:
	.asciz	"/root/src/amdgpu-assembly/repos/triton-lang__triton-aot" ; string offset=28
.Linfo_string3:
	.asciz	"matmul_kernel_persistent"      ; string offset=84
	.section	".note.GNU-stack","",@progbits
	.amdgpu_metadata
---
amdhsa.kernels:
  - .args:
      - .address_space:  global
        .offset:         0
        .size:           8
        .value_kind:     global_buffer
      - .address_space:  global
        .offset:         8
        .size:           8
        .value_kind:     global_buffer
      - .address_space:  global
        .offset:         16
        .size:           8
        .value_kind:     global_buffer
      - .offset:         24
        .size:           4
        .value_kind:     by_value
      - .offset:         28
        .size:           4
        .value_kind:     by_value
      - .offset:         32
        .size:           4
        .value_kind:     by_value
      - .offset:         36
        .size:           4
        .value_kind:     by_value
      - .offset:         40
        .size:           4
        .value_kind:     by_value
      - .offset:         44
        .size:           4
        .value_kind:     by_value
      - .offset:         48
        .size:           4
        .value_kind:     by_value
      - .offset:         52
        .size:           4
        .value_kind:     by_value
      - .offset:         56
        .size:           4
        .value_kind:     by_value
      - .address_space:  global
        .offset:         64
        .size:           8
        .value_kind:     global_buffer
      - .address_space:  global
        .offset:         72
        .size:           8
        .value_kind:     global_buffer
    .group_segment_fixed_size: 0
    .kernarg_segment_align: 8
    .kernarg_segment_size: 80
    .max_flat_workgroup_size: 256
    .name:           matmul_kernel_persistent
    .private_segment_fixed_size: 0
    .sgpr_count:     107
    .sgpr_spill_count: 50
    .symbol:         matmul_kernel_persistent.kd
    .uniform_work_group_size: 1
    .uses_dynamic_stack: false
    .vgpr_count:     242
    .vgpr_spill_count: 0
    .wavefront_size: 32
    .workgroup_processor_mode: 1
amdhsa.target:   amdgcn-amd-amdhsa--gfx1201
amdhsa.version:
  - 1
  - 2
...

	.end_amdgpu_metadata
	.section	.debug_line,"",@progbits
.Lline_table_start0:
